;; amdgpu-corpus repo=ROCm/rocFFT kind=compiled arch=gfx1030 opt=O3
	.text
	.amdgcn_target "amdgcn-amd-amdhsa--gfx1030"
	.amdhsa_code_object_version 6
	.protected	bluestein_single_fwd_len715_dim1_dp_op_CI_CI ; -- Begin function bluestein_single_fwd_len715_dim1_dp_op_CI_CI
	.globl	bluestein_single_fwd_len715_dim1_dp_op_CI_CI
	.p2align	8
	.type	bluestein_single_fwd_len715_dim1_dp_op_CI_CI,@function
bluestein_single_fwd_len715_dim1_dp_op_CI_CI: ; @bluestein_single_fwd_len715_dim1_dp_op_CI_CI
; %bb.0:
	s_mov_b64 s[50:51], s[2:3]
	s_mov_b64 s[48:49], s[0:1]
	s_load_dwordx4 s[0:3], s[4:5], 0x28
	v_mul_u32_u24_e32 v1, 0x3f1, v0
	s_add_u32 s48, s48, s7
	s_addc_u32 s49, s49, 0
	v_lshrrev_b32_e32 v1, 16, v1
	v_mad_u64_u32 v[3:4], null, s6, 3, v[1:2]
	v_mov_b32_e32 v4, 0
                                        ; kill: def $vgpr2 killed $sgpr0 killed $exec
	s_waitcnt lgkmcnt(0)
	v_cmp_gt_u64_e32 vcc_lo, s[0:1], v[3:4]
	s_and_saveexec_b32 s0, vcc_lo
	s_cbranch_execz .LBB0_23
; %bb.1:
	v_mul_hi_u32 v2, 0xaaaaaaab, v3
	v_mul_lo_u16 v1, 0x41, v1
	s_clause 0x1
	s_load_dwordx2 s[14:15], s[4:5], 0x0
	s_load_dwordx2 s[12:13], s[4:5], 0x38
	v_sub_nc_u16 v0, v0, v1
	v_mov_b32_e32 v1, v3
	v_lshrrev_b32_e32 v2, 1, v2
	v_cmp_gt_u16_e32 vcc_lo, 55, v0
	v_lshl_add_u32 v2, v2, 1, v2
	buffer_store_dword v1, off, s[48:51], 0 offset:12 ; 4-byte Folded Spill
	buffer_store_dword v2, off, s[48:51], 0 offset:16 ; 4-byte Folded Spill
	v_sub_nc_u32_e32 v1, v3, v2
	v_and_b32_e32 v2, 0xffff, v0
	v_mul_u32_u24_e32 v160, 0x2cb, v1
	v_lshlrev_b32_e32 v0, 4, v2
	buffer_store_dword v2, off, s[48:51], 0 ; 4-byte Folded Spill
	buffer_store_dword v0, off, s[48:51], 0 offset:4 ; 4-byte Folded Spill
	v_lshlrev_b32_e32 v0, 4, v160
	buffer_store_dword v0, off, s[48:51], 0 offset:8 ; 4-byte Folded Spill
	s_and_saveexec_b32 s1, vcc_lo
	s_cbranch_execz .LBB0_3
; %bb.2:
	buffer_load_dword v123, off, s[48:51], 0 offset:4 ; 4-byte Folded Reload
	s_load_dwordx2 s[6:7], s[4:5], 0x18
	s_waitcnt lgkmcnt(0)
	s_load_dwordx4 s[8:11], s[6:7], 0x0
	s_waitcnt vmcnt(0)
	s_clause 0x2
	global_load_dwordx4 v[0:3], v123, s[14:15]
	global_load_dwordx4 v[4:7], v123, s[14:15] offset:880
	global_load_dwordx4 v[8:11], v123, s[14:15] offset:1760
	s_clause 0x2
	buffer_load_dword v12, off, s[48:51], 0 offset:12
	buffer_load_dword v13, off, s[48:51], 0 offset:16
	buffer_load_dword v122, off, s[48:51], 0
	v_add_co_u32 v14, s0, s14, v123
	v_add_co_ci_u32_e64 v15, null, s15, 0, s0
	s_waitcnt lgkmcnt(0)
	s_mul_i32 s6, s9, 0x370
	v_add_co_u32 v16, s0, 0x800, v14
	v_add_co_ci_u32_e64 v17, s0, 0, v15, s0
	v_add_co_u32 v24, s0, 0x1000, v14
	v_add_co_ci_u32_e64 v25, s0, 0, v15, s0
	v_add_co_u32 v36, s0, 0x1800, v14
	v_add_co_ci_u32_e64 v37, s0, 0, v15, s0
	v_add_co_u32 v88, s0, 0x2000, v14
	v_add_co_ci_u32_e64 v89, s0, 0, v15, s0
	v_add_co_u32 v96, s0, 0x2800, v14
	v_add_co_ci_u32_e64 v97, s0, 0, v15, s0
	s_mul_hi_u32 s7, s8, 0x370
	s_add_i32 s7, s7, s6
	s_waitcnt vmcnt(1)
	v_mov_b32_e32 v13, v12
	s_waitcnt vmcnt(0)
	v_mad_u64_u32 v[28:29], null, s8, v122, 0
	v_mad_u64_u32 v[20:21], null, s10, v13, 0
	v_mov_b32_e32 v12, v21
	v_mad_u64_u32 v[12:13], null, s11, v13, v[12:13]
	v_mov_b32_e32 v13, v29
	v_mad_u64_u32 v[22:23], null, s9, v122, v[13:14]
	v_mov_b32_e32 v21, v12
	s_clause 0x1
	global_load_dwordx4 v[12:15], v[16:17], off offset:592
	global_load_dwordx4 v[16:19], v[16:17], off offset:1472
	v_lshlrev_b64 v[30:31], 4, v[20:21]
	v_mov_b32_e32 v29, v22
	s_clause 0x1
	global_load_dwordx4 v[20:23], v[24:25], off offset:304
	global_load_dwordx4 v[24:27], v[24:25], off offset:1184
	v_lshlrev_b64 v[28:29], 4, v[28:29]
	v_add_co_u32 v30, s0, s2, v30
	v_add_co_ci_u32_e64 v31, s0, s3, v31, s0
	s_mul_i32 s2, s8, 0x370
	v_add_co_u32 v40, s0, v30, v28
	v_add_co_ci_u32_e64 v41, s0, v31, v29, s0
	s_clause 0x1
	global_load_dwordx4 v[28:31], v[36:37], off offset:16
	global_load_dwordx4 v[32:35], v[36:37], off offset:896
	v_add_co_u32 v44, s0, v40, s2
	v_add_co_ci_u32_e64 v45, s0, s7, v41, s0
	global_load_dwordx4 v[36:39], v[36:37], off offset:1776
	v_add_co_u32 v48, s0, v44, s2
	v_add_co_ci_u32_e64 v49, s0, s7, v45, s0
	s_clause 0x1
	global_load_dwordx4 v[40:43], v[40:41], off
	global_load_dwordx4 v[44:47], v[44:45], off
	v_add_co_u32 v52, s0, v48, s2
	v_add_co_ci_u32_e64 v53, s0, s7, v49, s0
	v_add_co_u32 v56, s0, v52, s2
	v_add_co_ci_u32_e64 v57, s0, s7, v53, s0
	s_clause 0x1
	global_load_dwordx4 v[48:51], v[48:49], off
	global_load_dwordx4 v[52:55], v[52:53], off
	v_add_co_u32 v60, s0, v56, s2
	v_add_co_ci_u32_e64 v61, s0, s7, v57, s0
	global_load_dwordx4 v[56:59], v[56:57], off
	v_add_co_u32 v64, s0, v60, s2
	v_add_co_ci_u32_e64 v65, s0, s7, v61, s0
	global_load_dwordx4 v[60:63], v[60:61], off
	v_add_co_u32 v68, s0, v64, s2
	v_add_co_ci_u32_e64 v69, s0, s7, v65, s0
	global_load_dwordx4 v[64:67], v[64:65], off
	v_add_co_u32 v72, s0, v68, s2
	v_add_co_ci_u32_e64 v73, s0, s7, v69, s0
	global_load_dwordx4 v[68:71], v[68:69], off
	v_add_co_u32 v76, s0, v72, s2
	v_add_co_ci_u32_e64 v77, s0, s7, v73, s0
	global_load_dwordx4 v[72:75], v[72:73], off
	v_add_co_u32 v80, s0, v76, s2
	v_add_co_ci_u32_e64 v81, s0, s7, v77, s0
	global_load_dwordx4 v[76:79], v[76:77], off
	v_add_co_u32 v92, s0, v80, s2
	v_add_co_ci_u32_e64 v93, s0, s7, v81, s0
	global_load_dwordx4 v[80:83], v[80:81], off
	v_add_co_u32 v100, s0, v92, s2
	v_add_co_ci_u32_e64 v101, s0, s7, v93, s0
	s_clause 0x1
	global_load_dwordx4 v[84:87], v[88:89], off offset:608
	global_load_dwordx4 v[88:91], v[88:89], off offset:1488
	global_load_dwordx4 v[92:95], v[92:93], off
	global_load_dwordx4 v[96:99], v[96:97], off offset:320
	global_load_dwordx4 v[100:103], v[100:101], off
	s_waitcnt vmcnt(15)
	v_mul_f64 v[104:105], v[42:43], v[2:3]
	v_mul_f64 v[2:3], v[40:41], v[2:3]
	s_waitcnt vmcnt(14)
	v_mul_f64 v[106:107], v[46:47], v[6:7]
	v_mul_f64 v[6:7], v[44:45], v[6:7]
	;; [unrolled: 3-line block ×5, first 2 shown]
	v_fma_f64 v[40:41], v[40:41], v[0:1], v[104:105]
	s_waitcnt vmcnt(10)
	v_mul_f64 v[104:105], v[62:63], v[22:23]
	v_mul_f64 v[22:23], v[60:61], v[22:23]
	v_fma_f64 v[42:43], v[42:43], v[0:1], -v[2:3]
	v_fma_f64 v[0:1], v[44:45], v[4:5], v[106:107]
	s_waitcnt vmcnt(9)
	v_mul_f64 v[44:45], v[66:67], v[26:27]
	v_mul_f64 v[26:27], v[64:65], v[26:27]
	v_fma_f64 v[2:3], v[46:47], v[4:5], -v[6:7]
	s_waitcnt vmcnt(8)
	v_mul_f64 v[46:47], v[70:71], v[30:31]
	v_mul_f64 v[30:31], v[68:69], v[30:31]
	v_fma_f64 v[4:5], v[48:49], v[8:9], v[108:109]
	v_fma_f64 v[6:7], v[50:51], v[8:9], -v[10:11]
	v_fma_f64 v[8:9], v[52:53], v[12:13], v[110:111]
	s_waitcnt vmcnt(7)
	v_mul_f64 v[106:107], v[74:75], v[34:35]
	v_mul_f64 v[34:35], v[72:73], v[34:35]
	v_fma_f64 v[10:11], v[54:55], v[12:13], -v[14:15]
	v_fma_f64 v[12:13], v[56:57], v[16:17], v[112:113]
	v_fma_f64 v[14:15], v[58:59], v[16:17], -v[18:19]
	s_waitcnt vmcnt(6)
	v_mul_f64 v[114:115], v[78:79], v[38:39]
	v_mul_f64 v[38:39], v[76:77], v[38:39]
	v_lshlrev_b32_e32 v53, 4, v160
	v_fma_f64 v[16:17], v[60:61], v[20:21], v[104:105]
	v_fma_f64 v[18:19], v[62:63], v[20:21], -v[22:23]
	s_waitcnt vmcnt(4)
	v_mul_f64 v[116:117], v[82:83], v[86:87]
	v_mul_f64 v[86:87], v[80:81], v[86:87]
	s_waitcnt vmcnt(2)
	v_mul_f64 v[118:119], v[94:95], v[90:91]
	v_mul_f64 v[90:91], v[92:93], v[90:91]
	;; [unrolled: 3-line block ×3, first 2 shown]
	v_fma_f64 v[20:21], v[64:65], v[24:25], v[44:45]
	v_fma_f64 v[22:23], v[66:67], v[24:25], -v[26:27]
	v_fma_f64 v[24:25], v[68:69], v[28:29], v[46:47]
	v_fma_f64 v[26:27], v[70:71], v[28:29], -v[30:31]
	v_lshl_add_u32 v52, v122, 4, v53
	v_fma_f64 v[28:29], v[72:73], v[32:33], v[106:107]
	v_fma_f64 v[30:31], v[74:75], v[32:33], -v[34:35]
	v_add_nc_u32_e32 v53, v53, v123
	v_fma_f64 v[32:33], v[76:77], v[36:37], v[114:115]
	v_fma_f64 v[34:35], v[78:79], v[36:37], -v[38:39]
	v_fma_f64 v[36:37], v[80:81], v[84:85], v[116:117]
	v_fma_f64 v[38:39], v[82:83], v[84:85], -v[86:87]
	;; [unrolled: 2-line block ×4, first 2 shown]
	ds_write_b128 v52, v[40:43]
	ds_write_b128 v53, v[0:3] offset:880
	ds_write_b128 v53, v[4:7] offset:1760
	;; [unrolled: 1-line block ×12, first 2 shown]
.LBB0_3:
	s_or_b32 exec_lo, exec_lo, s1
	s_waitcnt lgkmcnt(0)
	s_waitcnt_vscnt null, 0x0
	s_barrier
	buffer_gl0_inv
                                        ; implicit-def: $vgpr0_vgpr1
                                        ; implicit-def: $vgpr60_vgpr61
                                        ; implicit-def: $vgpr56_vgpr57
                                        ; implicit-def: $vgpr52_vgpr53
                                        ; implicit-def: $vgpr48_vgpr49
                                        ; implicit-def: $vgpr44_vgpr45
                                        ; implicit-def: $vgpr40_vgpr41
                                        ; implicit-def: $vgpr36_vgpr37
                                        ; implicit-def: $vgpr32_vgpr33
                                        ; implicit-def: $vgpr28_vgpr29
                                        ; implicit-def: $vgpr12_vgpr13
                                        ; implicit-def: $vgpr8_vgpr9
                                        ; implicit-def: $vgpr4_vgpr5
	s_and_saveexec_b32 s0, vcc_lo
	s_cbranch_execz .LBB0_5
; %bb.4:
	buffer_load_dword v0, off, s[48:51], 0 offset:4 ; 4-byte Folded Reload
	s_waitcnt vmcnt(0)
	v_lshl_add_u32 v4, v160, 4, v0
	ds_read_b128 v[0:3], v4
	ds_read_b128 v[60:63], v4 offset:880
	ds_read_b128 v[56:59], v4 offset:1760
	;; [unrolled: 1-line block ×12, first 2 shown]
.LBB0_5:
	s_or_b32 exec_lo, exec_lo, s0
	s_waitcnt lgkmcnt(0)
	v_add_f64 v[88:89], v[62:63], -v[6:7]
	v_add_f64 v[92:93], v[60:61], -v[4:5]
	s_mov_b32 s0, 0x4267c47c
	s_mov_b32 s8, 0x42a4c3d2
	s_mov_b32 s18, 0x66966769
	s_mov_b32 s1, 0xbfddbe06
	s_mov_b32 s9, 0xbfea55e2
	s_mov_b32 s19, 0xbfefc445
	v_add_f64 v[86:87], v[60:61], v[4:5]
	v_add_f64 v[90:91], v[62:63], v[6:7]
	v_add_f64 v[68:69], v[58:59], -v[10:11]
	v_add_f64 v[66:67], v[56:57], -v[8:9]
	s_mov_b32 s10, 0xe00740e9
	s_mov_b32 s16, 0x1ea71119
	;; [unrolled: 1-line block ×10, first 2 shown]
	v_mul_f64 v[110:111], v[88:89], s[0:1]
	v_mul_f64 v[112:113], v[92:93], s[0:1]
	;; [unrolled: 1-line block ×5, first 2 shown]
	v_add_f64 v[64:65], v[56:57], v[8:9]
	v_add_f64 v[74:75], v[58:59], v[10:11]
	v_add_f64 v[76:77], v[54:55], -v[14:15]
	v_add_f64 v[70:71], v[52:53], -v[12:13]
	v_mul_f64 v[183:184], v[92:93], s[18:19]
	v_mul_f64 v[128:129], v[68:69], s[8:9]
	;; [unrolled: 1-line block ×6, first 2 shown]
	s_mov_b32 s24, 0xb2365da1
	s_mov_b32 s30, 0x93053d00
	;; [unrolled: 1-line block ×6, first 2 shown]
	v_add_f64 v[72:73], v[52:53], v[12:13]
	v_fma_f64 v[16:17], v[86:87], s[10:11], v[110:111]
	v_fma_f64 v[18:19], v[90:91], s[10:11], -v[112:113]
	v_fma_f64 v[20:21], v[86:87], s[16:17], v[140:141]
	v_fma_f64 v[22:23], v[90:91], s[16:17], -v[144:145]
	v_fma_f64 v[24:25], v[86:87], s[22:23], v[179:180]
	v_add_f64 v[80:81], v[54:55], v[14:15]
	v_add_f64 v[78:79], v[48:49], -v[28:29]
	v_add_f64 v[82:83], v[50:51], -v[30:31]
	v_mul_f64 v[142:143], v[76:77], s[18:19]
	v_mul_f64 v[146:147], v[70:71], s[18:19]
	;; [unrolled: 1-line block ×3, first 2 shown]
	v_fma_f64 v[26:27], v[90:91], s[22:23], -v[183:184]
	v_fma_f64 v[106:107], v[64:65], s[16:17], v[128:129]
	v_fma_f64 v[108:109], v[74:75], s[16:17], -v[136:137]
	v_mul_f64 v[130:131], v[76:77], s[26:27]
	v_fma_f64 v[114:115], v[64:65], s[24:25], v[122:123]
	v_fma_f64 v[132:133], v[74:75], s[24:25], -v[124:125]
	v_mul_f64 v[120:121], v[76:77], s[28:29]
	v_fma_f64 v[138:139], v[64:65], s[30:31], v[116:117]
	s_mov_b32 s42, 0x24c2f84
	s_mov_b32 s43, 0x3fe5384d
	s_mov_b32 s37, 0x3fddbe06
	v_add_f64 v[16:17], v[0:1], v[16:17]
	v_add_f64 v[18:19], v[2:3], v[18:19]
	;; [unrolled: 1-line block ×5, first 2 shown]
	s_mov_b32 s36, s0
	v_add_f64 v[84:85], v[48:49], v[28:29]
	v_add_f64 v[100:101], v[50:51], v[30:31]
	v_add_f64 v[98:99], v[46:47], -v[34:35]
	v_mul_f64 v[158:159], v[82:83], s[20:21]
	v_mul_f64 v[126:127], v[70:71], s[28:29]
	v_fma_f64 v[148:149], v[74:75], s[30:31], -v[118:119]
	v_add_f64 v[26:27], v[2:3], v[26:27]
	v_mul_f64 v[165:166], v[78:79], s[20:21]
	v_fma_f64 v[152:153], v[72:73], s[22:23], v[142:143]
	v_fma_f64 v[156:157], v[80:81], s[22:23], -v[146:147]
	v_mul_f64 v[150:151], v[82:83], s[42:43]
	v_fma_f64 v[161:162], v[72:73], s[24:25], v[120:121]
	s_mov_b32 s40, 0xd0032e0c
	s_mov_b32 s35, 0xbfe5384d
	;; [unrolled: 1-line block ×4, first 2 shown]
	v_add_f64 v[16:17], v[106:107], v[16:17]
	v_add_f64 v[18:19], v[108:109], v[18:19]
	v_fma_f64 v[108:109], v[72:73], s[30:31], v[130:131]
	v_add_f64 v[20:21], v[114:115], v[20:21]
	v_add_f64 v[22:23], v[132:133], v[22:23]
	;; [unrolled: 1-line block ×3, first 2 shown]
	v_mul_f64 v[132:133], v[82:83], s[36:37]
	s_mov_b32 s39, 0x3fefc445
	s_mov_b32 s38, s18
	v_add_f64 v[96:97], v[44:45], v[32:33]
	v_add_f64 v[106:107], v[42:43], -v[38:39]
	v_mul_f64 v[138:139], v[78:79], s[36:37]
	v_mul_f64 v[171:172], v[98:99], s[34:35]
	v_fma_f64 v[169:170], v[80:81], s[24:25], -v[126:127]
	v_add_f64 v[26:27], v[148:149], v[26:27]
	v_fma_f64 v[173:174], v[84:85], s[24:25], v[158:159]
	v_fma_f64 v[185:186], v[100:101], s[24:25], -v[165:166]
	v_mul_f64 v[163:164], v[98:99], s[38:39]
	v_mul_f64 v[148:149], v[98:99], s[8:9]
	s_clause 0x1
	s_load_dwordx2 s[6:7], s[4:5], 0x20
	s_load_dwordx2 s[2:3], s[4:5], 0x8
	v_mul_f64 v[134:135], v[70:71], s[26:27]
	v_add_f64 v[94:95], v[44:45], -v[32:33]
	v_add_f64 v[16:17], v[152:153], v[16:17]
	v_add_f64 v[18:19], v[156:157], v[18:19]
	v_fma_f64 v[156:157], v[84:85], s[40:41], v[150:151]
	v_add_f64 v[20:21], v[108:109], v[20:21]
	v_add_f64 v[108:109], v[40:41], v[36:37]
	;; [unrolled: 1-line block ×3, first 2 shown]
	v_fma_f64 v[189:190], v[84:85], s[10:11], v[132:133]
	v_mul_f64 v[154:155], v[78:79], s[42:43]
	v_add_f64 v[104:105], v[46:47], v[34:35]
	v_add_f64 v[102:103], v[40:41], -v[36:37]
	v_mul_f64 v[177:178], v[106:107], s[26:27]
	v_fma_f64 v[191:192], v[100:101], s[10:11], -v[138:139]
	v_fma_f64 v[193:194], v[96:97], s[40:41], v[171:172]
	v_add_f64 v[26:27], v[169:170], v[26:27]
	v_mul_f64 v[169:170], v[106:107], s[36:37]
	v_fma_f64 v[114:115], v[80:81], s[30:31], -v[134:135]
	v_mul_f64 v[175:176], v[94:95], s[34:35]
	v_add_f64 v[16:17], v[173:174], v[16:17]
	v_add_f64 v[18:19], v[185:186], v[18:19]
	v_fma_f64 v[185:186], v[96:97], s[22:23], v[163:164]
	v_add_f64 v[20:21], v[156:157], v[20:21]
	v_mul_f64 v[156:157], v[106:107], s[34:35]
	v_mul_f64 v[167:168], v[94:95], s[38:39]
	v_add_f64 v[24:25], v[189:190], v[24:25]
	v_fma_f64 v[189:190], v[96:97], s[16:17], v[148:149]
	v_fma_f64 v[187:188], v[100:101], s[40:41], -v[154:155]
	v_mul_f64 v[152:153], v[94:95], s[8:9]
	v_mul_f64 v[181:182], v[102:103], s[26:27]
	;; [unrolled: 1-line block ×4, first 2 shown]
	v_add_f64 v[26:27], v[191:192], v[26:27]
	v_fma_f64 v[191:192], v[108:109], s[30:31], v[177:178]
	v_fma_f64 v[201:202], v[108:109], s[10:11], v[169:170]
	v_add_f64 v[22:23], v[114:115], v[22:23]
	v_add_f64 v[114:115], v[42:43], v[38:39]
	;; [unrolled: 1-line block ×3, first 2 shown]
	v_fma_f64 v[195:196], v[104:105], s[40:41], -v[175:176]
	v_add_f64 v[20:21], v[185:186], v[20:21]
	v_fma_f64 v[205:206], v[108:109], s[40:41], v[156:157]
	v_add_f64 v[185:186], v[189:190], v[24:25]
	v_fma_f64 v[197:198], v[104:105], s[16:17], -v[152:153]
	v_add_f64 v[22:23], v[187:188], v[22:23]
	v_fma_f64 v[187:188], v[104:105], s[22:23], -v[167:168]
	v_add_f64 v[24:25], v[191:192], v[16:17]
	v_fma_f64 v[199:200], v[114:115], s[30:31], -v[181:182]
	v_fma_f64 v[203:204], v[114:115], s[10:11], -v[173:174]
	v_fma_f64 v[207:208], v[114:115], s[40:41], -v[161:162]
	v_add_f64 v[18:19], v[195:196], v[18:19]
	v_add_f64 v[20:21], v[201:202], v[20:21]
	;; [unrolled: 1-line block ×3, first 2 shown]
	buffer_load_dword v185, off, s[48:51], 0 ; 4-byte Folded Reload
	v_add_f64 v[22:23], v[187:188], v[22:23]
	v_add_f64 v[187:188], v[197:198], v[26:27]
	;; [unrolled: 1-line block ×5, first 2 shown]
	s_waitcnt vmcnt(0)
	v_mul_lo_u16 v185, v185, 13
	buffer_store_dword v185, off, s[48:51], 0 offset:52 ; 4-byte Folded Spill
	s_waitcnt lgkmcnt(0)
	s_waitcnt_vscnt null, 0x0
	s_barrier
	buffer_gl0_inv
	s_and_saveexec_b32 s33, vcc_lo
	s_cbranch_execz .LBB0_7
; %bb.6:
	v_add_f64 v[60:61], v[0:1], v[60:61]
	v_add_f64 v[62:63], v[2:3], v[62:63]
	s_mov_b32 s5, 0x3fcea1e5
	s_mov_b32 s4, s26
	s_mov_b32 s45, 0x3fea55e2
	s_mov_b32 s44, s8
	v_add_f64 v[56:57], v[60:61], v[56:57]
	v_add_f64 v[58:59], v[62:63], v[58:59]
	v_add_f64 v[52:53], v[56:57], v[52:53]
	v_add_f64 v[54:55], v[58:59], v[54:55]
	v_add_f64 v[48:49], v[52:53], v[48:49]
	v_add_f64 v[50:51], v[54:55], v[50:51]
	v_add_f64 v[44:45], v[48:49], v[44:45]
	v_add_f64 v[46:47], v[50:51], v[46:47]
	v_mul_f64 v[48:49], v[88:89], s[20:21]
	v_add_f64 v[40:41], v[44:45], v[40:41]
	v_add_f64 v[42:43], v[46:47], v[42:43]
	v_mul_f64 v[44:45], v[88:89], s[26:27]
	v_mul_f64 v[46:47], v[88:89], s[34:35]
	v_fma_f64 v[54:55], v[86:87], s[24:25], -v[48:49]
	v_fma_f64 v[48:49], v[86:87], s[24:25], v[48:49]
	v_add_f64 v[36:37], v[40:41], v[36:37]
	v_add_f64 v[38:39], v[42:43], v[38:39]
	v_mul_f64 v[40:41], v[86:87], s[10:11]
	v_mul_f64 v[42:43], v[86:87], s[16:17]
	v_fma_f64 v[50:51], v[86:87], s[30:31], v[44:45]
	v_fma_f64 v[44:45], v[86:87], s[30:31], -v[44:45]
	v_fma_f64 v[52:53], v[86:87], s[40:41], v[46:47]
	v_fma_f64 v[46:47], v[86:87], s[40:41], -v[46:47]
	v_add_f64 v[32:33], v[36:37], v[32:33]
	v_add_f64 v[34:35], v[38:39], v[34:35]
	v_mul_f64 v[36:37], v[90:91], s[16:17]
	v_mul_f64 v[38:39], v[90:91], s[10:11]
	v_add_f64 v[40:41], v[40:41], -v[110:111]
	v_add_f64 v[42:43], v[42:43], -v[140:141]
	v_add_f64 v[50:51], v[0:1], v[50:51]
	v_add_f64 v[44:45], v[0:1], v[44:45]
	;; [unrolled: 1-line block ×4, first 2 shown]
	v_mul_f64 v[110:111], v[106:107], s[38:39]
	v_add_f64 v[28:29], v[32:33], v[28:29]
	v_add_f64 v[30:31], v[34:35], v[30:31]
	v_mul_f64 v[34:35], v[86:87], s[22:23]
	v_add_f64 v[36:37], v[144:145], v[36:37]
	v_add_f64 v[38:39], v[112:113], v[38:39]
	;; [unrolled: 3-line block ×3, first 2 shown]
	v_mul_f64 v[28:29], v[90:91], s[24:25]
	v_add_f64 v[34:35], v[34:35], -v[179:180]
	v_add_f64 v[32:33], v[183:184], v[32:33]
	v_add_f64 v[8:9], v[12:13], v[8:9]
	v_mul_f64 v[12:13], v[90:91], s[40:41]
	v_add_f64 v[10:11], v[14:15], v[10:11]
	v_fma_f64 v[30:31], v[92:93], s[28:29], v[28:29]
	v_fma_f64 v[28:29], v[92:93], s[20:21], v[28:29]
	v_add_f64 v[34:35], v[0:1], v[34:35]
	v_add_f64 v[32:33], v[2:3], v[32:33]
	;; [unrolled: 1-line block ×3, first 2 shown]
	v_mul_f64 v[8:9], v[90:91], s[30:31]
	v_fma_f64 v[14:15], v[92:93], s[42:43], v[12:13]
	v_add_f64 v[6:7], v[10:11], v[6:7]
	v_fma_f64 v[12:13], v[92:93], s[34:35], v[12:13]
	v_add_f64 v[60:61], v[2:3], v[28:29]
	v_add_f64 v[28:29], v[2:3], v[36:37]
	;; [unrolled: 1-line block ×4, first 2 shown]
	v_mul_f64 v[48:49], v[80:81], s[40:41]
	v_fma_f64 v[10:11], v[92:93], s[4:5], v[8:9]
	v_add_f64 v[56:57], v[2:3], v[14:15]
	v_add_f64 v[14:15], v[0:1], v[40:41]
	;; [unrolled: 1-line block ×3, first 2 shown]
	v_mul_f64 v[30:31], v[74:75], s[10:11]
	v_add_f64 v[58:59], v[2:3], v[12:13]
	v_add_f64 v[12:13], v[2:3], v[38:39]
	;; [unrolled: 1-line block ×3, first 2 shown]
	v_fma_f64 v[8:9], v[92:93], s[26:27], v[8:9]
	v_mul_f64 v[92:93], v[114:115], s[22:23]
	v_add_f64 v[10:11], v[2:3], v[10:11]
	v_fma_f64 v[0:1], v[66:67], s[0:1], v[30:31]
	v_fma_f64 v[30:31], v[66:67], s[36:37], v[30:31]
	v_add_f64 v[8:9], v[2:3], v[8:9]
	v_add_f64 v[0:1], v[0:1], v[10:11]
	v_mul_f64 v[10:11], v[68:69], s[36:37]
	v_add_f64 v[8:9], v[30:31], v[8:9]
	v_fma_f64 v[30:31], v[70:71], s[34:35], v[48:49]
	v_fma_f64 v[2:3], v[64:65], s[10:11], v[10:11]
	v_fma_f64 v[10:11], v[64:65], s[10:11], -v[10:11]
	v_add_f64 v[8:9], v[30:31], v[8:9]
	v_add_f64 v[2:3], v[2:3], v[50:51]
	v_fma_f64 v[50:51], v[70:71], s[42:43], v[48:49]
	v_add_f64 v[10:11], v[10:11], v[44:45]
	v_fma_f64 v[44:45], v[108:109], s[22:23], -v[110:111]
	v_mul_f64 v[48:49], v[80:81], s[22:23]
	v_add_f64 v[0:1], v[50:51], v[0:1]
	v_mul_f64 v[50:51], v[76:77], s[34:35]
	v_add_f64 v[48:49], v[146:147], v[48:49]
	v_fma_f64 v[54:55], v[72:73], s[40:41], v[50:51]
	v_fma_f64 v[30:31], v[72:73], s[40:41], -v[50:51]
	v_mul_f64 v[50:51], v[72:73], s[22:23]
	v_add_f64 v[2:3], v[54:55], v[2:3]
	v_mul_f64 v[54:55], v[100:101], s[16:17]
	v_add_f64 v[10:11], v[30:31], v[10:11]
	v_add_f64 v[50:51], v[50:51], -v[142:143]
	v_fma_f64 v[62:63], v[78:79], s[8:9], v[54:55]
	v_fma_f64 v[30:31], v[78:79], s[44:45], v[54:55]
	v_mul_f64 v[54:55], v[100:101], s[24:25]
	v_add_f64 v[0:1], v[62:63], v[0:1]
	v_mul_f64 v[62:63], v[82:83], s[44:45]
	v_add_f64 v[8:9], v[30:31], v[8:9]
	v_add_f64 v[54:55], v[165:166], v[54:55]
	v_fma_f64 v[86:87], v[84:85], s[16:17], v[62:63]
	v_fma_f64 v[30:31], v[84:85], s[16:17], -v[62:63]
	v_mul_f64 v[62:63], v[84:85], s[24:25]
	v_add_f64 v[2:3], v[86:87], v[2:3]
	v_mul_f64 v[86:87], v[104:105], s[24:25]
	v_add_f64 v[10:11], v[30:31], v[10:11]
	v_add_f64 v[62:63], v[62:63], -v[158:159]
	v_fma_f64 v[88:89], v[94:95], s[28:29], v[86:87]
	v_fma_f64 v[30:31], v[94:95], s[20:21], v[86:87]
	v_mul_f64 v[86:87], v[104:105], s[40:41]
	v_add_f64 v[0:1], v[88:89], v[0:1]
	v_mul_f64 v[88:89], v[98:99], s[20:21]
	v_add_f64 v[8:9], v[30:31], v[8:9]
	v_add_f64 v[86:87], v[175:176], v[86:87]
	v_fma_f64 v[30:31], v[96:97], s[24:25], -v[88:89]
	v_fma_f64 v[90:91], v[96:97], s[24:25], v[88:89]
	v_mul_f64 v[88:89], v[96:97], s[16:17]
	v_add_f64 v[30:31], v[30:31], v[10:11]
	v_fma_f64 v[10:11], v[102:103], s[38:39], v[92:93]
	v_add_f64 v[90:91], v[90:91], v[2:3]
	v_fma_f64 v[2:3], v[102:103], s[18:19], v[92:93]
	v_add_f64 v[88:89], v[88:89], -v[148:149]
	v_mul_f64 v[92:93], v[108:109], s[40:41]
	v_add_f64 v[10:11], v[10:11], v[8:9]
	v_add_f64 v[8:9], v[44:45], v[30:31]
	v_mul_f64 v[30:31], v[74:75], s[16:17]
	v_mul_f64 v[44:45], v[64:65], s[16:17]
	v_add_f64 v[2:3], v[2:3], v[0:1]
	v_fma_f64 v[0:1], v[108:109], s[22:23], v[110:111]
	v_add_f64 v[92:93], v[92:93], -v[156:157]
	v_add_f64 v[30:31], v[136:137], v[30:31]
	v_add_f64 v[44:45], v[44:45], -v[128:129]
	v_add_f64 v[0:1], v[0:1], v[90:91]
	v_mul_f64 v[90:91], v[114:115], s[40:41]
	v_add_f64 v[12:13], v[30:31], v[12:13]
	v_add_f64 v[14:15], v[44:45], v[14:15]
	v_mul_f64 v[30:31], v[96:97], s[40:41]
	v_mul_f64 v[44:45], v[114:115], s[30:31]
	v_add_f64 v[90:91], v[161:162], v[90:91]
	v_add_f64 v[12:13], v[48:49], v[12:13]
	;; [unrolled: 1-line block ×3, first 2 shown]
	v_add_f64 v[30:31], v[30:31], -v[171:172]
	v_mul_f64 v[48:49], v[108:109], s[30:31]
	v_add_f64 v[44:45], v[181:182], v[44:45]
	v_mul_f64 v[50:51], v[72:73], s[30:31]
	v_add_f64 v[12:13], v[54:55], v[12:13]
	v_add_f64 v[14:15], v[62:63], v[14:15]
	v_mul_f64 v[54:55], v[100:101], s[40:41]
	v_add_f64 v[48:49], v[48:49], -v[177:178]
	v_mul_f64 v[62:63], v[84:85], s[40:41]
	v_add_f64 v[50:51], v[50:51], -v[130:131]
	v_add_f64 v[12:13], v[86:87], v[12:13]
	v_add_f64 v[30:31], v[30:31], v[14:15]
	;; [unrolled: 1-line block ×3, first 2 shown]
	v_mul_f64 v[86:87], v[104:105], s[22:23]
	v_add_f64 v[62:63], v[62:63], -v[150:151]
	v_add_f64 v[14:15], v[44:45], v[12:13]
	v_add_f64 v[12:13], v[48:49], v[30:31]
	v_mul_f64 v[30:31], v[74:75], s[24:25]
	v_mul_f64 v[44:45], v[64:65], s[24:25]
	;; [unrolled: 1-line block ×3, first 2 shown]
	v_add_f64 v[86:87], v[167:168], v[86:87]
	v_add_f64 v[30:31], v[124:125], v[30:31]
	v_add_f64 v[44:45], v[44:45], -v[122:123]
	v_add_f64 v[48:49], v[134:135], v[48:49]
	v_add_f64 v[28:29], v[30:31], v[28:29]
	;; [unrolled: 1-line block ×3, first 2 shown]
	v_mul_f64 v[36:37], v[96:97], s[22:23]
	v_mul_f64 v[44:45], v[114:115], s[10:11]
	v_add_f64 v[28:29], v[48:49], v[28:29]
	v_add_f64 v[30:31], v[50:51], v[30:31]
	v_add_f64 v[36:37], v[36:37], -v[163:164]
	v_mul_f64 v[48:49], v[108:109], s[10:11]
	v_add_f64 v[44:45], v[173:174], v[44:45]
	v_mul_f64 v[50:51], v[72:73], s[24:25]
	v_add_f64 v[28:29], v[54:55], v[28:29]
	v_add_f64 v[30:31], v[62:63], v[30:31]
	v_mul_f64 v[54:55], v[100:101], s[10:11]
	v_add_f64 v[48:49], v[48:49], -v[169:170]
	v_mul_f64 v[62:63], v[84:85], s[10:11]
	v_add_f64 v[50:51], v[50:51], -v[120:121]
	v_add_f64 v[28:29], v[86:87], v[28:29]
	v_add_f64 v[36:37], v[36:37], v[30:31]
	;; [unrolled: 1-line block ×3, first 2 shown]
	v_mul_f64 v[86:87], v[104:105], s[16:17]
	v_add_f64 v[62:63], v[62:63], -v[132:133]
	v_add_f64 v[30:31], v[44:45], v[28:29]
	v_add_f64 v[28:29], v[48:49], v[36:37]
	v_mul_f64 v[36:37], v[74:75], s[30:31]
	v_mul_f64 v[44:45], v[64:65], s[30:31]
	v_mul_f64 v[48:49], v[80:81], s[24:25]
	v_add_f64 v[86:87], v[152:153], v[86:87]
	v_add_f64 v[36:37], v[118:119], v[36:37]
	v_add_f64 v[44:45], v[44:45], -v[116:117]
	v_add_f64 v[48:49], v[126:127], v[48:49]
	v_add_f64 v[32:33], v[36:37], v[32:33]
	v_mul_f64 v[36:37], v[74:75], s[40:41]
	v_add_f64 v[34:35], v[44:45], v[34:35]
	v_mul_f64 v[74:75], v[74:75], s[22:23]
	v_add_f64 v[32:33], v[48:49], v[32:33]
	v_fma_f64 v[44:45], v[66:67], s[42:43], v[36:37]
	v_add_f64 v[34:35], v[50:51], v[34:35]
	v_mul_f64 v[48:49], v[80:81], s[10:11]
	v_fma_f64 v[36:37], v[66:67], s[34:35], v[36:37]
	v_add_f64 v[32:33], v[54:55], v[32:33]
	v_add_f64 v[44:45], v[44:45], v[60:61]
	v_mul_f64 v[60:61], v[68:69], s[42:43]
	v_fma_f64 v[50:51], v[70:71], s[36:37], v[48:49]
	v_add_f64 v[34:35], v[62:63], v[34:35]
	v_mul_f64 v[54:55], v[100:101], s[22:23]
	v_fma_f64 v[48:49], v[70:71], s[0:1], v[48:49]
	v_add_f64 v[36:37], v[36:37], v[40:41]
	v_add_f64 v[32:33], v[86:87], v[32:33]
	v_fma_f64 v[110:111], v[64:65], s[40:41], -v[60:61]
	v_add_f64 v[44:45], v[50:51], v[44:45]
	v_mul_f64 v[50:51], v[76:77], s[36:37]
	v_fma_f64 v[62:63], v[78:79], s[18:19], v[54:55]
	v_add_f64 v[86:87], v[88:89], v[34:35]
	v_mul_f64 v[34:35], v[104:105], s[30:31]
	v_fma_f64 v[60:61], v[64:65], s[40:41], v[60:61]
	v_add_f64 v[36:37], v[48:49], v[36:37]
	v_add_f64 v[38:39], v[110:111], v[38:39]
	v_fma_f64 v[110:111], v[66:67], s[18:19], v[74:75]
	v_add_f64 v[44:45], v[62:63], v[44:45]
	v_mul_f64 v[62:63], v[82:83], s[18:19]
	v_fma_f64 v[88:89], v[94:95], s[4:5], v[34:35]
	v_add_f64 v[42:43], v[60:61], v[42:43]
	v_fma_f64 v[34:35], v[94:95], s[26:27], v[34:35]
	v_add_f64 v[56:57], v[110:111], v[56:57]
	v_fma_f64 v[110:111], v[72:73], s[10:11], -v[50:51]
	v_fma_f64 v[50:51], v[72:73], s[10:11], v[50:51]
	v_add_f64 v[44:45], v[88:89], v[44:45]
	v_mul_f64 v[88:89], v[98:99], s[4:5]
	v_add_f64 v[38:39], v[110:111], v[38:39]
	v_fma_f64 v[110:111], v[84:85], s[22:23], -v[62:63]
	v_add_f64 v[42:43], v[50:51], v[42:43]
	v_fma_f64 v[50:51], v[96:97], s[30:31], v[88:89]
	v_add_f64 v[38:39], v[110:111], v[38:39]
	v_fma_f64 v[110:111], v[96:97], s[30:31], -v[88:89]
	v_add_f64 v[110:111], v[110:111], v[38:39]
	v_mul_f64 v[38:39], v[68:69], s[38:39]
	v_fma_f64 v[68:69], v[64:65], s[22:23], v[38:39]
	v_fma_f64 v[38:39], v[64:65], s[22:23], -v[38:39]
	v_add_f64 v[52:53], v[68:69], v[52:53]
	v_fma_f64 v[68:69], v[66:67], s[38:39], v[74:75]
	v_add_f64 v[38:39], v[38:39], v[46:47]
	v_mul_f64 v[46:47], v[100:101], s[30:31]
	v_mul_f64 v[66:67], v[98:99], s[36:37]
	v_add_f64 v[58:59], v[68:69], v[58:59]
	v_mul_f64 v[68:69], v[80:81], s[16:17]
	v_fma_f64 v[74:75], v[70:71], s[44:45], v[68:69]
	v_fma_f64 v[68:69], v[70:71], s[8:9], v[68:69]
	v_add_f64 v[56:57], v[74:75], v[56:57]
	v_mul_f64 v[74:75], v[76:77], s[8:9]
	v_add_f64 v[58:59], v[68:69], v[58:59]
	v_fma_f64 v[68:69], v[78:79], s[26:27], v[46:47]
	v_fma_f64 v[46:47], v[78:79], s[4:5], v[46:47]
	;; [unrolled: 1-line block ×3, first 2 shown]
	v_add_f64 v[56:57], v[68:69], v[56:57]
	v_add_f64 v[46:47], v[46:47], v[58:59]
	v_fma_f64 v[58:59], v[72:73], s[16:17], -v[74:75]
	v_mul_f64 v[68:69], v[82:83], s[4:5]
	v_add_f64 v[52:53], v[76:77], v[52:53]
	v_add_f64 v[38:39], v[58:59], v[38:39]
	v_mul_f64 v[58:59], v[104:105], s[10:11]
	v_fma_f64 v[48:49], v[84:85], s[30:31], -v[68:69]
	v_fma_f64 v[76:77], v[84:85], s[30:31], v[68:69]
	v_fma_f64 v[40:41], v[94:95], s[36:37], v[58:59]
	;; [unrolled: 1-line block ×3, first 2 shown]
	v_add_f64 v[38:39], v[48:49], v[38:39]
	v_add_f64 v[52:53], v[76:77], v[52:53]
	v_fma_f64 v[48:49], v[84:85], s[22:23], v[62:63]
	v_mul_f64 v[62:63], v[106:107], s[44:45]
	v_mul_f64 v[58:59], v[114:115], s[24:25]
	v_add_f64 v[40:41], v[40:41], v[46:47]
	v_fma_f64 v[46:47], v[78:79], s[38:39], v[54:55]
	v_add_f64 v[56:57], v[74:75], v[56:57]
	v_fma_f64 v[74:75], v[96:97], s[10:11], v[66:67]
	v_mul_f64 v[54:55], v[114:115], s[16:17]
	v_add_f64 v[42:43], v[48:49], v[42:43]
	v_fma_f64 v[60:61], v[102:103], s[28:29], v[58:59]
	v_fma_f64 v[58:59], v[102:103], s[20:21], v[58:59]
	v_add_f64 v[36:37], v[46:47], v[36:37]
	v_fma_f64 v[46:47], v[96:97], s[10:11], -v[66:67]
	v_add_f64 v[52:53], v[74:75], v[52:53]
	v_fma_f64 v[48:49], v[102:103], s[44:45], v[54:55]
	v_fma_f64 v[54:55], v[102:103], s[8:9], v[54:55]
	v_add_f64 v[70:71], v[50:51], v[42:43]
	v_add_f64 v[42:43], v[58:59], v[40:41]
	;; [unrolled: 1-line block ×4, first 2 shown]
	v_mul_f64 v[38:39], v[106:107], s[20:21]
	v_fma_f64 v[36:37], v[108:109], s[16:17], -v[62:63]
	v_fma_f64 v[62:63], v[108:109], s[16:17], v[62:63]
	v_add_f64 v[34:35], v[90:91], v[32:33]
	v_add_f64 v[32:33], v[92:93], v[86:87]
	;; [unrolled: 1-line block ×3, first 2 shown]
	v_fma_f64 v[68:69], v[108:109], s[24:25], v[38:39]
	v_fma_f64 v[66:67], v[108:109], s[24:25], -v[38:39]
	v_add_f64 v[38:39], v[48:49], v[44:45]
	v_add_f64 v[36:37], v[36:37], v[110:111]
	;; [unrolled: 1-line block ×4, first 2 shown]
	buffer_load_dword v52, off, s[48:51], 0 offset:52 ; 4-byte Folded Reload
	v_add_f64 v[40:41], v[66:67], v[46:47]
	v_add_f64 v[46:47], v[60:61], v[56:57]
	s_waitcnt vmcnt(0)
	v_and_b32_e32 v52, 0xffff, v52
	v_add_lshl_u32 v52, v160, v52, 4
	ds_write_b128 v52, v[4:7]
	ds_write_b128 v52, v[12:15] offset:16
	ds_write_b128 v52, v[28:31] offset:32
	;; [unrolled: 1-line block ×12, first 2 shown]
.LBB0_7:
	s_or_b32 exec_lo, exec_lo, s33
	buffer_load_dword v0, off, s[48:51], 0  ; 4-byte Folded Reload
	s_waitcnt vmcnt(0) lgkmcnt(0)
	s_barrier
	buffer_gl0_inv
                                        ; implicit-def: $vgpr100_vgpr101
                                        ; implicit-def: $vgpr104_vgpr105
	v_add_lshl_u32 v255, v160, v0, 4
	v_cmp_gt_u16_e64 s0, 13, v0
	ds_read_b128 v[32:35], v255
	ds_read_b128 v[28:31], v255 offset:1040
	ds_read_b128 v[92:95], v255 offset:2288
	;; [unrolled: 1-line block ×9, first 2 shown]
	s_and_saveexec_b32 s1, s0
	s_cbranch_execz .LBB0_9
; %bb.8:
	ds_read_b128 v[16:19], v255 offset:2080
	ds_read_b128 v[20:23], v255 offset:4368
	;; [unrolled: 1-line block ×5, first 2 shown]
.LBB0_9:
	s_or_b32 exec_lo, exec_lo, s1
	buffer_load_dword v5, off, s[48:51], 0  ; 4-byte Folded Reload
	v_mov_b32_e32 v201, 0x41
	s_mov_b32 s10, 0x134454ff
	s_mov_b32 s11, 0x3fee6f0e
	;; [unrolled: 1-line block ×10, first 2 shown]
	s_waitcnt vmcnt(0)
	v_and_b32_e32 v0, 0xff, v5
	v_add_nc_u16 v1, v5, 0x82
	v_add_nc_u16 v2, v5, 0x41
	v_mul_lo_u16 v0, 0x4f, v0
	v_and_b32_e32 v3, 0xff, v1
	v_and_b32_e32 v4, 0xff, v2
	v_lshrrev_b16 v151, 10, v0
	v_mul_lo_u16 v0, 0x4f, v3
	v_mul_lo_u16 v3, 0x4f, v4
	;; [unrolled: 1-line block ×3, first 2 shown]
	v_lshrrev_b16 v0, 10, v0
	v_lshrrev_b16 v109, 10, v3
	v_mov_b32_e32 v3, 6
	v_mul_u32_u24_sdwa v202, v151, v201 dst_sel:DWORD dst_unused:UNUSED_PAD src0_sel:WORD_0 src1_sel:DWORD
	v_sub_nc_u16 v159, v5, v4
	v_mul_lo_u16 v0, v0, 13
	v_mul_lo_u16 v4, v109, 13
	v_lshlrev_b32_sdwa v5, v3, v159 dst_sel:DWORD dst_unused:UNUSED_PAD src0_sel:DWORD src1_sel:BYTE_0
	v_sub_nc_u16 v108, v1, v0
	v_sub_nc_u16 v110, v2, v4
	s_clause 0x1
	global_load_dwordx4 v[76:79], v5, s[2:3]
	global_load_dwordx4 v[72:75], v5, s[2:3] offset:16
	v_lshlrev_b16 v0, 2, v108
	v_lshlrev_b32_sdwa v1, v3, v110 dst_sel:DWORD dst_unused:UNUSED_PAD src0_sel:DWORD src1_sel:BYTE_0
	s_clause 0x3
	global_load_dwordx4 v[64:67], v5, s[2:3] offset:32
	global_load_dwordx4 v[68:71], v5, s[2:3] offset:48
	global_load_dwordx4 v[36:39], v1, s[2:3]
	global_load_dwordx4 v[44:47], v1, s[2:3] offset:16
	v_and_b32_e32 v0, 0xfc, v0
	v_lshlrev_b32_e32 v0, 4, v0
	s_clause 0x5
	global_load_dwordx4 v[48:51], v1, s[2:3] offset:32
	global_load_dwordx4 v[40:43], v1, s[2:3] offset:48
	global_load_dwordx4 v[152:155], v0, s[2:3]
	global_load_dwordx4 v[12:15], v0, s[2:3] offset:16
	global_load_dwordx4 v[8:11], v0, s[2:3] offset:32
	;; [unrolled: 1-line block ×3, first 2 shown]
	s_waitcnt vmcnt(11) lgkmcnt(7)
	v_mul_f64 v[0:1], v[94:95], v[78:79]
	v_mul_f64 v[2:3], v[92:93], v[78:79]
	s_waitcnt vmcnt(10) lgkmcnt(5)
	v_mul_f64 v[6:7], v[96:97], v[74:75]
	v_mul_f64 v[4:5], v[98:99], v[74:75]
	;; [unrolled: 3-line block ×4, first 2 shown]
	s_waitcnt vmcnt(7)
	v_mul_f64 v[119:120], v[54:55], v[38:39]
	v_mul_f64 v[121:122], v[52:53], v[38:39]
	s_waitcnt vmcnt(6)
	v_mul_f64 v[123:124], v[58:59], v[46:47]
	v_mul_f64 v[125:126], v[56:57], v[46:47]
	;; [unrolled: 3-line block ×4, first 2 shown]
	s_waitcnt lgkmcnt(0)
	v_mul_f64 v[131:132], v[82:83], v[42:43]
	s_waitcnt vmcnt(0)
	v_mul_f64 v[147:148], v[106:107], v[163:164]
	v_mul_f64 v[149:150], v[104:105], v[163:164]
	;; [unrolled: 1-line block ×5, first 2 shown]
	v_fma_f64 v[92:93], v[92:93], v[76:77], -v[0:1]
	v_mul_f64 v[143:144], v[102:103], v[10:11]
	v_fma_f64 v[98:99], v[98:99], v[72:73], v[6:7]
	v_mul_f64 v[145:146], v[100:101], v[10:11]
	v_fma_f64 v[94:95], v[94:95], v[76:77], v[2:3]
	v_fma_f64 v[96:97], v[96:97], v[72:73], -v[4:5]
	v_fma_f64 v[84:85], v[84:85], v[64:65], -v[111:112]
	v_fma_f64 v[90:91], v[90:91], v[68:69], v[117:118]
	v_fma_f64 v[86:87], v[86:87], v[64:65], v[113:114]
	v_fma_f64 v[88:89], v[88:89], v[68:69], -v[115:116]
	v_fma_f64 v[111:112], v[52:53], v[36:37], -v[119:120]
	v_fma_f64 v[54:55], v[54:55], v[36:37], v[121:122]
	v_fma_f64 v[56:57], v[56:57], v[44:45], -v[123:124]
	v_fma_f64 v[58:59], v[58:59], v[44:45], v[125:126]
	v_fma_f64 v[0:1], v[20:21], v[152:153], -v[135:136]
	buffer_store_dword v152, off, s[48:51], 0 offset:68 ; 4-byte Folded Spill
	buffer_store_dword v153, off, s[48:51], 0 offset:72 ; 4-byte Folded Spill
	;; [unrolled: 1-line block ×4, first 2 shown]
	v_fma_f64 v[60:61], v[60:61], v[48:49], -v[127:128]
	v_fma_f64 v[6:7], v[104:105], v[161:162], -v[147:148]
	buffer_store_dword v161, off, s[48:51], 0 offset:84 ; 4-byte Folded Spill
	buffer_store_dword v162, off, s[48:51], 0 offset:88 ; 4-byte Folded Spill
	;; [unrolled: 1-line block ×4, first 2 shown]
	v_fma_f64 v[62:63], v[62:63], v[48:49], v[129:130]
	v_fma_f64 v[80:81], v[80:81], v[40:41], -v[131:132]
	v_fma_f64 v[82:83], v[82:83], v[40:41], v[133:134]
	v_fma_f64 v[2:3], v[24:25], v[12:13], -v[139:140]
	;; [unrolled: 2-line block ×3, first 2 shown]
	v_add_f64 v[26:27], v[32:33], v[92:93]
	v_add_f64 v[121:122], v[34:35], v[94:95]
	v_add_f64 v[117:118], v[96:97], -v[92:93]
	v_add_f64 v[100:101], v[96:97], v[84:85]
	v_add_f64 v[127:128], v[94:95], -v[98:99]
	;; [unrolled: 2-line block ×4, first 2 shown]
	v_add_f64 v[129:130], v[90:91], -v[86:87]
	v_add_f64 v[131:132], v[94:95], v[90:91]
	v_add_f64 v[135:136], v[28:29], v[111:112]
	v_add_f64 v[104:105], v[98:99], -v[86:87]
	v_add_f64 v[125:126], v[96:97], -v[84:85]
	;; [unrolled: 1-line block ×5, first 2 shown]
	v_add_f64 v[147:148], v[111:112], v[80:81]
	v_add_f64 v[139:140], v[54:55], -v[82:83]
	v_add_f64 v[165:166], v[54:55], v[82:83]
	v_add_f64 v[167:168], v[62:63], -v[82:83]
	v_add_f64 v[169:170], v[2:3], v[4:5]
	v_add_f64 v[155:156], v[58:59], v[62:63]
	v_add_f64 v[187:188], v[0:1], -v[6:7]
	v_add_f64 v[26:27], v[26:27], v[96:97]
	v_add_f64 v[133:134], v[86:87], -v[90:91]
	;; [unrolled: 2-line block ×3, first 2 shown]
	v_add_f64 v[175:176], v[0:1], -v[2:3]
	v_add_f64 v[177:178], v[6:7], -v[4:5]
	;; [unrolled: 1-line block ×5, first 2 shown]
	v_add_f64 v[26:27], v[26:27], v[84:85]
	v_add_f64 v[26:27], v[26:27], v[88:89]
	v_fma_f64 v[52:53], v[22:23], v[152:153], v[137:138]
	v_fma_f64 v[22:23], v[102:103], v[8:9], v[145:146]
	v_add_f64 v[137:138], v[56:57], v[60:61]
	v_fma_f64 v[24:25], v[106:107], v[161:162], v[149:150]
	v_add_f64 v[106:107], v[92:93], -v[96:97]
	v_add_f64 v[153:154], v[30:31], v[54:55]
	v_add_f64 v[161:162], v[54:55], -v[58:59]
	v_add_f64 v[54:55], v[58:59], -v[54:55]
	;; [unrolled: 1-line block ×7, first 2 shown]
	v_fma_f64 v[96:97], v[100:101], -0.5, v[32:33]
	v_fma_f64 v[32:33], v[115:116], -0.5, v[32:33]
	v_add_f64 v[98:99], v[121:122], v[98:99]
	v_add_f64 v[115:116], v[127:128], v[129:130]
	;; [unrolled: 1-line block ×3, first 2 shown]
	v_add_f64 v[145:146], v[80:81], -v[60:61]
	v_add_f64 v[111:112], v[111:112], -v[80:81]
	v_add_f64 v[135:136], v[181:182], v[183:184]
	v_add_f64 v[191:192], v[52:53], -v[20:21]
	v_add_f64 v[185:186], v[20:21], v[22:23]
	v_add_f64 v[173:174], v[20:21], -v[22:23]
	v_add_f64 v[171:172], v[52:53], -v[24:25]
	v_add_f64 v[100:101], v[106:107], v[113:114]
	v_add_f64 v[106:107], v[117:118], v[119:120]
	v_fma_f64 v[113:114], v[123:124], -0.5, v[34:35]
	v_fma_f64 v[34:35], v[131:132], -0.5, v[34:35]
	;; [unrolled: 1-line block ×4, first 2 shown]
	v_add_f64 v[129:130], v[54:55], v[167:168]
	v_fma_f64 v[54:55], v[169:170], -0.5, v[16:17]
	v_add_f64 v[195:196], v[52:53], v[24:25]
	v_add_f64 v[193:194], v[24:25], -v[22:23]
	v_add_f64 v[121:122], v[149:150], v[151:152]
	v_add_f64 v[58:59], v[153:154], v[58:59]
	v_fma_f64 v[123:124], v[155:156], -0.5, v[30:31]
	v_fma_f64 v[30:31], v[165:166], -0.5, v[30:31]
	v_fma_f64 v[84:85], v[102:103], s[10:11], v[96:97]
	v_fma_f64 v[96:97], v[102:103], s[18:19], v[96:97]
	;; [unrolled: 1-line block ×3, first 2 shown]
	v_add_f64 v[86:87], v[98:99], v[86:87]
	v_add_f64 v[56:57], v[56:57], v[60:61]
	v_fma_f64 v[137:138], v[185:186], -0.5, v[18:19]
	v_add_f64 v[94:95], v[94:95], v[133:134]
	v_add_f64 v[119:120], v[143:144], v[145:146]
	v_fma_f64 v[133:134], v[179:180], -0.5, v[16:17]
	v_add_f64 v[127:128], v[161:162], v[163:164]
	v_fma_f64 v[98:99], v[92:93], s[18:19], v[113:114]
	v_fma_f64 v[151:152], v[125:126], s[10:11], v[34:35]
	;; [unrolled: 1-line block ×8, first 2 shown]
	v_fma_f64 v[145:146], v[195:196], -0.5, v[18:19]
	v_add_f64 v[131:132], v[175:176], v[177:178]
	v_add_f64 v[143:144], v[191:192], v[193:194]
	v_fma_f64 v[32:33], v[104:105], s[10:11], v[32:33]
	v_fma_f64 v[113:114], v[92:93], s[10:11], v[113:114]
	;; [unrolled: 1-line block ×3, first 2 shown]
	v_add_f64 v[58:59], v[58:59], v[62:63]
	v_fma_f64 v[161:162], v[157:158], s[10:11], v[30:31]
	v_fma_f64 v[163:164], v[157:158], s[18:19], v[30:31]
	;; [unrolled: 1-line block ×7, first 2 shown]
	v_add_f64 v[28:29], v[86:87], v[90:91]
	v_fma_f64 v[86:87], v[125:126], s[16:17], v[98:99]
	v_fma_f64 v[98:99], v[92:93], s[16:17], v[151:152]
	;; [unrolled: 1-line block ×7, first 2 shown]
	v_add_f64 v[197:198], v[20:21], -v[52:53]
	v_add_f64 v[199:200], v[22:23], -v[24:25]
	v_fma_f64 v[167:168], v[173:174], s[18:19], v[133:134]
	v_fma_f64 v[133:134], v[173:174], s[10:11], v[133:134]
	;; [unrolled: 1-line block ×10, first 2 shown]
	v_add_f64 v[32:33], v[58:59], v[82:83]
	v_fma_f64 v[125:126], v[111:112], s[16:17], v[161:162]
	v_fma_f64 v[139:140], v[111:112], s[8:9], v[163:164]
	;; [unrolled: 1-line block ×9, first 2 shown]
	v_add_f64 v[30:31], v[56:57], v[80:81]
	v_add_f64 v[147:148], v[197:198], v[199:200]
	v_fma_f64 v[151:152], v[171:172], s[8:9], v[167:168]
	v_fma_f64 v[133:134], v[171:172], s[16:17], v[133:134]
	;; [unrolled: 1-line block ×19, first 2 shown]
	v_add_nc_u32_sdwa v34, v202, v159 dst_sel:DWORD dst_unused:UNUSED_PAD src0_sel:DWORD src1_sel:BYTE_0
	v_mul_u32_u24_sdwa v35, v109, v201 dst_sel:DWORD dst_unused:UNUSED_PAD src0_sel:WORD_0 src1_sel:DWORD
	buffer_store_dword v117, off, s[48:51], 0 offset:36 ; 4-byte Folded Spill
	buffer_store_dword v118, off, s[48:51], 0 offset:40 ; 4-byte Folded Spill
	;; [unrolled: 1-line block ×4, first 2 shown]
	v_fma_f64 v[115:116], v[135:136], s[4:5], v[133:134]
	v_fma_f64 v[117:118], v[147:148], s[4:5], v[145:146]
	;; [unrolled: 1-line block ×6, first 2 shown]
	v_add_lshl_u32 v62, v160, v34, 4
	v_add_nc_u32_sdwa v34, v35, v110 dst_sel:DWORD dst_unused:UNUSED_PAD src0_sel:DWORD src1_sel:BYTE_0
	buffer_store_dword v115, off, s[48:51], 0 offset:20 ; 4-byte Folded Spill
	buffer_store_dword v116, off, s[48:51], 0 offset:24 ; 4-byte Folded Spill
	;; [unrolled: 1-line block ×4, first 2 shown]
	s_load_dwordx4 s[4:7], s[6:7], 0x0
	s_waitcnt lgkmcnt(0)
	s_waitcnt_vscnt null, 0x0
	s_barrier
	buffer_gl0_inv
	ds_write_b128 v62, v[26:29]
	v_add_lshl_u32 v27, v160, v34, 4
	v_and_b32_e32 v26, 0xff, v108
	ds_write_b128 v62, v[54:57] offset:208
	ds_write_b128 v62, v[80:83] offset:416
	ds_write_b128 v62, v[84:87] offset:624
	buffer_store_dword v62, off, s[48:51], 0 offset:64 ; 4-byte Folded Spill
	ds_write_b128 v62, v[58:61] offset:832
	ds_write_b128 v27, v[30:33]
	buffer_store_dword v26, off, s[48:51], 0 offset:56 ; 4-byte Folded Spill
	ds_write_b128 v27, v[88:91] offset:208
	ds_write_b128 v27, v[104:107] offset:416
	;; [unrolled: 1-line block ×3, first 2 shown]
	buffer_store_dword v27, off, s[48:51], 0 offset:60 ; 4-byte Folded Spill
	ds_write_b128 v27, v[92:95] offset:832
	s_and_saveexec_b32 s1, s0
	s_cbranch_execz .LBB0_11
; %bb.10:
	v_add_f64 v[0:1], v[16:17], v[0:1]
	v_add_f64 v[18:19], v[18:19], v[52:53]
	;; [unrolled: 1-line block ×5, first 2 shown]
	buffer_load_dword v4, off, s[48:51], 0 offset:56 ; 4-byte Folded Reload
	v_add_f64 v[2:3], v[16:17], v[22:23]
	v_add_f64 v[0:1], v[0:1], v[6:7]
	;; [unrolled: 1-line block ×3, first 2 shown]
	s_waitcnt vmcnt(0)
	v_add_lshl_u32 v4, v160, v4, 4
	ds_write_b128 v4, v[100:103] offset:10608
	ds_write_b128 v4, v[96:99] offset:10816
	s_clause 0x3
	buffer_load_dword v16, off, s[48:51], 0 offset:20
	buffer_load_dword v17, off, s[48:51], 0 offset:24
	;; [unrolled: 1-line block ×4, first 2 shown]
	s_waitcnt vmcnt(0)
	ds_write_b128 v4, v[16:19] offset:11024
	ds_write_b128 v4, v[0:3] offset:10400
	s_clause 0x3
	buffer_load_dword v0, off, s[48:51], 0 offset:36
	buffer_load_dword v1, off, s[48:51], 0 offset:40
	;; [unrolled: 1-line block ×4, first 2 shown]
	s_waitcnt vmcnt(0)
	ds_write_b128 v4, v[0:3] offset:11232
.LBB0_11:
	s_or_b32 exec_lo, exec_lo, s1
	buffer_load_dword v160, off, s[48:51], 0 ; 4-byte Folded Reload
	s_waitcnt vmcnt(0) lgkmcnt(0)
	s_waitcnt_vscnt null, 0x0
	s_barrier
	buffer_gl0_inv
	s_mov_b32 s26, 0xf8bb580b
	s_mov_b32 s18, 0x43842ef
	;; [unrolled: 1-line block ×24, first 2 shown]
	v_mad_u64_u32 v[104:105], null, 0xa0, v160, s[2:3]
	s_mov_b32 s2, 0x640f44db
	s_mov_b32 s3, 0xbfc2375f
	s_clause 0x7
	global_load_dwordx4 v[60:63], v[104:105], off offset:832
	global_load_dwordx4 v[32:35], v[104:105], off offset:848
	;; [unrolled: 1-line block ×8, first 2 shown]
	ds_read_b128 v[0:3], v255 offset:1040
	ds_read_b128 v[4:7], v255 offset:2080
	;; [unrolled: 1-line block ×3, first 2 shown]
	ds_read_b128 v[84:87], v255
	ds_read_b128 v[88:91], v255 offset:4160
	ds_read_b128 v[92:95], v255 offset:5200
	s_waitcnt vmcnt(7) lgkmcnt(5)
	v_mul_f64 v[106:107], v[2:3], v[62:63]
	v_mul_f64 v[108:109], v[0:1], v[62:63]
	s_waitcnt vmcnt(6) lgkmcnt(4)
	v_mul_f64 v[110:111], v[6:7], v[34:35]
	v_mul_f64 v[112:113], v[4:5], v[34:35]
	;; [unrolled: 3-line block ×4, first 2 shown]
	s_waitcnt vmcnt(3) lgkmcnt(0)
	v_mul_f64 v[122:123], v[94:95], v[30:31]
	v_fma_f64 v[106:107], v[0:1], v[60:61], -v[106:107]
	v_fma_f64 v[108:109], v[2:3], v[60:61], v[108:109]
	ds_read_b128 v[0:3], v255 offset:6240
	v_fma_f64 v[136:137], v[4:5], v[32:33], -v[110:111]
	v_fma_f64 v[138:139], v[6:7], v[32:33], v[112:113]
	ds_read_b128 v[4:7], v255 offset:7280
	v_fma_f64 v[148:149], v[80:81], v[20:21], -v[114:115]
	v_mul_f64 v[110:111], v[92:93], v[30:31]
	v_fma_f64 v[150:151], v[82:83], v[20:21], v[116:117]
	v_fma_f64 v[152:153], v[88:89], v[16:17], -v[118:119]
	v_fma_f64 v[154:155], v[90:91], v[16:17], v[120:121]
	v_fma_f64 v[156:157], v[92:93], v[28:29], -v[122:123]
	s_waitcnt vmcnt(2) lgkmcnt(1)
	v_mul_f64 v[80:81], v[2:3], v[26:27]
	v_mul_f64 v[82:83], v[0:1], v[26:27]
	v_add_f64 v[181:182], v[84:85], v[106:107]
	s_waitcnt vmcnt(1) lgkmcnt(0)
	v_mul_f64 v[88:89], v[6:7], v[54:55]
	v_add_f64 v[183:184], v[86:87], v[108:109]
	v_fma_f64 v[158:159], v[94:95], v[28:29], v[110:111]
	v_fma_f64 v[161:162], v[0:1], v[24:25], -v[80:81]
	v_mul_f64 v[0:1], v[4:5], v[54:55]
	v_fma_f64 v[163:164], v[2:3], v[24:25], v[82:83]
	v_fma_f64 v[165:166], v[4:5], v[52:53], -v[88:89]
	v_add_f64 v[211:212], v[156:157], v[161:162]
	v_fma_f64 v[167:168], v[6:7], v[52:53], v[0:1]
	ds_read_b128 v[0:3], v255 offset:8320
	ds_read_b128 v[4:7], v255 offset:9360
	s_clause 0x1
	global_load_dwordx4 v[88:91], v[104:105], off offset:960
	global_load_dwordx4 v[92:95], v[104:105], off offset:976
	v_add_f64 v[185:186], v[152:153], v[165:166]
	v_add_f64 v[205:206], v[152:153], -v[165:166]
	v_add_f64 v[209:210], v[158:159], -v[163:164]
	v_add_f64 v[215:216], v[156:157], -v[161:162]
	v_add_f64 v[217:218], v[158:159], v[163:164]
	s_waitcnt vmcnt(2) lgkmcnt(1)
	v_mul_f64 v[80:81], v[2:3], v[58:59]
	v_add_f64 v[201:202], v[154:155], -v[167:168]
	v_add_f64 v[187:188], v[154:155], v[167:168]
	v_mul_f64 v[207:208], v[205:206], s[22:23]
	v_mul_f64 v[213:214], v[209:210], s[28:29]
	v_fma_f64 v[169:170], v[0:1], v[56:57], -v[80:81]
	v_mul_f64 v[0:1], v[0:1], v[58:59]
	v_mul_f64 v[203:204], v[201:202], s[22:23]
	v_add_f64 v[197:198], v[148:149], -v[169:170]
	v_fma_f64 v[171:172], v[2:3], v[56:57], v[0:1]
	v_mul_f64 v[199:200], v[197:198], s[18:19]
	s_waitcnt vmcnt(1) lgkmcnt(0)
	v_mul_f64 v[0:1], v[6:7], v[90:91]
	v_fma_f64 v[173:174], v[4:5], v[88:89], -v[0:1]
	v_mul_f64 v[0:1], v[4:5], v[90:91]
	v_fma_f64 v[175:176], v[6:7], v[88:89], v[0:1]
	ds_read_b128 v[0:3], v255 offset:10400
	s_waitcnt vmcnt(0) lgkmcnt(0)
	v_mul_f64 v[4:5], v[0:1], v[94:95]
	v_fma_f64 v[177:178], v[2:3], v[92:93], v[4:5]
	v_mul_f64 v[2:3], v[2:3], v[94:95]
	v_add_f64 v[126:127], v[108:109], v[177:178]
	v_fma_f64 v[179:180], v[0:1], v[92:93], -v[2:3]
	v_add_f64 v[0:1], v[108:109], -v[177:178]
	v_add_f64 v[82:83], v[106:107], v[179:180]
	v_mul_f64 v[2:3], v[0:1], s[26:27]
	v_mul_f64 v[4:5], v[0:1], s[20:21]
	;; [unrolled: 1-line block ×5, first 2 shown]
	v_fma_f64 v[104:105], v[82:83], s[10:11], -v[2:3]
	v_fma_f64 v[2:3], v[82:83], s[10:11], v[2:3]
	v_fma_f64 v[110:111], v[82:83], s[8:9], -v[4:5]
	v_fma_f64 v[4:5], v[82:83], s[8:9], v[4:5]
	;; [unrolled: 2-line block ×5, first 2 shown]
	v_add_f64 v[0:1], v[106:107], -v[179:180]
	v_add_f64 v[104:105], v[84:85], v[104:105]
	v_add_f64 v[189:190], v[84:85], v[2:3]
	;; [unrolled: 1-line block ×4, first 2 shown]
	v_add_f64 v[4:5], v[138:139], -v[175:176]
	v_add_f64 v[134:135], v[84:85], v[114:115]
	v_add_f64 v[2:3], v[84:85], v[120:121]
	v_mul_f64 v[118:119], v[0:1], s[20:21]
	v_mul_f64 v[116:117], v[0:1], s[26:27]
	;; [unrolled: 1-line block ×6, first 2 shown]
	v_fma_f64 v[130:131], v[126:127], s[8:9], v[118:119]
	v_fma_f64 v[118:119], v[126:127], s[8:9], -v[118:119]
	v_fma_f64 v[128:129], v[126:127], s[10:11], v[116:117]
	v_fma_f64 v[116:117], v[126:127], s[10:11], -v[116:117]
	;; [unrolled: 2-line block ×5, first 2 shown]
	v_add_f64 v[126:127], v[84:85], v[112:113]
	v_add_f64 v[195:196], v[86:87], v[130:131]
	;; [unrolled: 1-line block ×16, first 2 shown]
	v_add_f64 v[140:141], v[150:151], -v[171:172]
	v_add_f64 v[144:145], v[148:149], v[169:170]
	v_add_f64 v[146:147], v[150:151], v[171:172]
	v_fma_f64 v[6:7], v[84:85], s[8:9], -v[120:121]
	v_mul_f64 v[142:143], v[140:141], s[18:19]
	v_add_f64 v[104:105], v[6:7], v[104:105]
	v_add_f64 v[6:7], v[136:137], -v[173:174]
	v_mul_f64 v[122:123], v[6:7], s[20:21]
	s_mov_b32 s21, 0x3fed1bb4
	v_fma_f64 v[112:113], v[86:87], s[8:9], v[122:123]
	v_add_f64 v[106:107], v[112:113], v[106:107]
	v_fma_f64 v[112:113], v[144:145], s[2:3], -v[142:143]
	v_add_f64 v[104:105], v[112:113], v[104:105]
	v_fma_f64 v[112:113], v[146:147], s[2:3], v[199:200]
	v_add_f64 v[106:107], v[112:113], v[106:107]
	v_fma_f64 v[112:113], v[185:186], s[16:17], -v[203:204]
	v_add_f64 v[104:105], v[112:113], v[104:105]
	;; [unrolled: 4-line block ×3, first 2 shown]
	v_mul_f64 v[104:105], v[215:216], s[28:29]
	v_fma_f64 v[114:115], v[217:218], s[24:25], v[104:105]
	v_add_f64 v[114:115], v[114:115], v[106:107]
	v_fma_f64 v[106:107], v[84:85], s[8:9], v[120:121]
	v_fma_f64 v[120:121], v[86:87], s[8:9], -v[122:123]
	v_fma_f64 v[122:123], v[144:145], s[2:3], v[142:143]
	v_fma_f64 v[142:143], v[217:218], s[24:25], -v[104:105]
	v_add_f64 v[106:107], v[106:107], v[189:190]
	v_add_f64 v[120:121], v[120:121], v[191:192]
	v_mul_f64 v[191:192], v[140:141], s[36:37]
	v_mul_f64 v[189:190], v[6:7], s[22:23]
	v_add_f64 v[106:107], v[122:123], v[106:107]
	v_fma_f64 v[122:123], v[146:147], s[2:3], -v[199:200]
	v_add_f64 v[120:121], v[122:123], v[120:121]
	v_fma_f64 v[122:123], v[185:186], s[16:17], v[203:204]
	v_add_f64 v[106:107], v[122:123], v[106:107]
	v_fma_f64 v[122:123], v[187:188], s[16:17], -v[207:208]
	v_add_f64 v[120:121], v[122:123], v[120:121]
	v_fma_f64 v[122:123], v[211:212], s[24:25], v[213:214]
	v_add_f64 v[104:105], v[122:123], v[106:107]
	v_add_f64 v[106:107], v[142:143], v[120:121]
	v_mul_f64 v[142:143], v[4:5], s[22:23]
	v_fma_f64 v[122:123], v[86:87], s[16:17], v[189:190]
	v_fma_f64 v[120:121], v[84:85], s[16:17], -v[142:143]
	v_add_f64 v[122:123], v[122:123], v[195:196]
	v_fma_f64 v[142:143], v[84:85], s[16:17], v[142:143]
	v_add_f64 v[120:121], v[120:121], v[193:194]
	v_fma_f64 v[193:194], v[144:145], s[24:25], -v[191:192]
	v_add_f64 v[110:111], v[142:143], v[110:111]
	v_fma_f64 v[142:143], v[86:87], s[16:17], -v[189:190]
	v_add_f64 v[120:121], v[193:194], v[120:121]
	v_mul_f64 v[193:194], v[197:198], s[36:37]
	v_add_f64 v[108:109], v[142:143], v[108:109]
	v_fma_f64 v[142:143], v[144:145], s[24:25], v[191:192]
	v_fma_f64 v[195:196], v[146:147], s[24:25], v[193:194]
	v_add_f64 v[110:111], v[142:143], v[110:111]
	v_fma_f64 v[142:143], v[146:147], s[24:25], -v[193:194]
	v_add_f64 v[122:123], v[195:196], v[122:123]
	v_mul_f64 v[195:196], v[201:202], s[34:35]
	v_add_f64 v[108:109], v[142:143], v[108:109]
	v_fma_f64 v[199:200], v[185:186], s[2:3], -v[195:196]
	v_fma_f64 v[142:143], v[185:186], s[2:3], v[195:196]
	v_add_f64 v[120:121], v[199:200], v[120:121]
	v_mul_f64 v[199:200], v[205:206], s[34:35]
	v_add_f64 v[110:111], v[142:143], v[110:111]
	v_fma_f64 v[203:204], v[187:188], s[2:3], v[199:200]
	v_fma_f64 v[142:143], v[187:188], s[2:3], -v[199:200]
	v_add_f64 v[122:123], v[203:204], v[122:123]
	v_mul_f64 v[203:204], v[209:210], s[30:31]
	v_add_f64 v[142:143], v[142:143], v[108:109]
	v_fma_f64 v[207:208], v[211:212], s[10:11], -v[203:204]
	v_fma_f64 v[108:109], v[211:212], s[10:11], v[203:204]
	v_add_f64 v[120:121], v[207:208], v[120:121]
	v_mul_f64 v[207:208], v[215:216], s[30:31]
	v_add_f64 v[108:109], v[108:109], v[110:111]
	v_fma_f64 v[189:190], v[217:218], s[10:11], -v[207:208]
	v_fma_f64 v[213:214], v[217:218], s[10:11], v[207:208]
	v_mul_f64 v[207:208], v[209:210], s[22:23]
	v_add_f64 v[110:111], v[189:190], v[142:143]
	v_mul_f64 v[142:143], v[4:5], s[36:37]
	v_add_f64 v[122:123], v[213:214], v[122:123]
	v_mul_f64 v[213:214], v[215:216], s[22:23]
	v_fma_f64 v[189:190], v[84:85], s[24:25], -v[142:143]
	v_fma_f64 v[142:143], v[84:85], s[24:25], v[142:143]
	v_add_f64 v[126:127], v[189:190], v[126:127]
	v_mul_f64 v[189:190], v[6:7], s[36:37]
	v_add_f64 v[118:119], v[142:143], v[118:119]
	v_fma_f64 v[191:192], v[86:87], s[24:25], v[189:190]
	v_fma_f64 v[142:143], v[86:87], s[24:25], -v[189:190]
	v_fma_f64 v[189:190], v[217:218], s[16:17], -v[213:214]
	v_add_f64 v[124:125], v[191:192], v[124:125]
	v_mul_f64 v[191:192], v[140:141], s[20:21]
	v_add_f64 v[116:117], v[142:143], v[116:117]
	v_fma_f64 v[193:194], v[144:145], s[8:9], -v[191:192]
	v_fma_f64 v[142:143], v[144:145], s[8:9], v[191:192]
	v_add_f64 v[126:127], v[193:194], v[126:127]
	v_mul_f64 v[193:194], v[197:198], s[20:21]
	v_add_f64 v[118:119], v[142:143], v[118:119]
	v_fma_f64 v[195:196], v[146:147], s[8:9], v[193:194]
	v_fma_f64 v[142:143], v[146:147], s[8:9], -v[193:194]
	v_add_f64 v[124:125], v[195:196], v[124:125]
	v_mul_f64 v[195:196], v[201:202], s[26:27]
	v_add_f64 v[116:117], v[142:143], v[116:117]
	v_fma_f64 v[199:200], v[185:186], s[10:11], -v[195:196]
	v_fma_f64 v[142:143], v[185:186], s[10:11], v[195:196]
	v_add_f64 v[126:127], v[199:200], v[126:127]
	v_mul_f64 v[199:200], v[205:206], s[26:27]
	v_add_f64 v[118:119], v[142:143], v[118:119]
	v_fma_f64 v[142:143], v[187:188], s[10:11], -v[199:200]
	v_fma_f64 v[203:204], v[187:188], s[10:11], v[199:200]
	v_add_f64 v[142:143], v[142:143], v[116:117]
	v_fma_f64 v[116:117], v[211:212], s[16:17], v[207:208]
	v_add_f64 v[203:204], v[203:204], v[124:125]
	v_fma_f64 v[124:125], v[211:212], s[16:17], -v[207:208]
	v_mul_f64 v[207:208], v[209:210], s[20:21]
	v_add_f64 v[116:117], v[116:117], v[118:119]
	v_add_f64 v[118:119], v[189:190], v[142:143]
	v_mul_f64 v[142:143], v[4:5], s[34:35]
	v_add_f64 v[124:125], v[124:125], v[126:127]
	v_fma_f64 v[126:127], v[217:218], s[16:17], v[213:214]
	v_mul_f64 v[213:214], v[215:216], s[20:21]
	v_mul_f64 v[4:5], v[4:5], s[30:31]
	v_fma_f64 v[189:190], v[84:85], s[2:3], -v[142:143]
	v_fma_f64 v[142:143], v[84:85], s[2:3], v[142:143]
	v_add_f64 v[126:127], v[126:127], v[203:204]
	v_add_f64 v[134:135], v[189:190], v[134:135]
	v_mul_f64 v[189:190], v[6:7], s[34:35]
	v_add_f64 v[130:131], v[142:143], v[130:131]
	v_mul_f64 v[6:7], v[6:7], s[30:31]
	v_fma_f64 v[191:192], v[86:87], s[2:3], v[189:190]
	v_fma_f64 v[142:143], v[86:87], s[2:3], -v[189:190]
	v_fma_f64 v[189:190], v[217:218], s[8:9], -v[213:214]
	v_add_f64 v[132:133], v[191:192], v[132:133]
	v_mul_f64 v[191:192], v[140:141], s[26:27]
	v_add_f64 v[128:129], v[142:143], v[128:129]
	v_fma_f64 v[193:194], v[144:145], s[10:11], -v[191:192]
	v_fma_f64 v[142:143], v[144:145], s[10:11], v[191:192]
	v_mul_f64 v[191:192], v[197:198], s[22:23]
	v_add_f64 v[134:135], v[193:194], v[134:135]
	v_mul_f64 v[193:194], v[197:198], s[26:27]
	v_add_f64 v[130:131], v[142:143], v[130:131]
	v_mul_f64 v[197:198], v[209:210], s[18:19]
	v_fma_f64 v[195:196], v[146:147], s[10:11], v[193:194]
	v_fma_f64 v[142:143], v[146:147], s[10:11], -v[193:194]
	v_mul_f64 v[193:194], v[201:202], s[20:21]
	v_add_f64 v[132:133], v[195:196], v[132:133]
	v_mul_f64 v[195:196], v[201:202], s[28:29]
	v_add_f64 v[128:129], v[142:143], v[128:129]
	v_fma_f64 v[199:200], v[185:186], s[24:25], -v[195:196]
	v_fma_f64 v[142:143], v[185:186], s[24:25], v[195:196]
	v_mul_f64 v[195:196], v[205:206], s[20:21]
	v_add_f64 v[134:135], v[199:200], v[134:135]
	v_mul_f64 v[199:200], v[205:206], s[28:29]
	v_add_f64 v[130:131], v[142:143], v[130:131]
	v_fma_f64 v[142:143], v[187:188], s[24:25], -v[199:200]
	v_fma_f64 v[203:204], v[187:188], s[24:25], v[199:200]
	v_mul_f64 v[199:200], v[215:216], s[18:19]
	v_add_f64 v[142:143], v[142:143], v[128:129]
	v_fma_f64 v[128:129], v[211:212], s[8:9], v[207:208]
	v_add_f64 v[203:204], v[203:204], v[132:133]
	v_fma_f64 v[132:133], v[211:212], s[8:9], -v[207:208]
	v_add_f64 v[128:129], v[128:129], v[130:131]
	v_add_f64 v[130:131], v[189:190], v[142:143]
	v_fma_f64 v[142:143], v[84:85], s[10:11], -v[4:5]
	v_mul_f64 v[189:190], v[140:141], s[22:23]
	v_add_f64 v[132:133], v[132:133], v[134:135]
	v_fma_f64 v[134:135], v[217:218], s[8:9], v[213:214]
	v_add_f64 v[2:3], v[142:143], v[2:3]
	v_fma_f64 v[142:143], v[86:87], s[10:11], v[6:7]
	v_fma_f64 v[140:141], v[144:145], s[16:17], -v[189:190]
	v_add_f64 v[134:135], v[134:135], v[203:204]
	v_add_f64 v[0:1], v[142:143], v[0:1]
	;; [unrolled: 1-line block ×3, first 2 shown]
	v_fma_f64 v[140:141], v[146:147], s[16:17], v[191:192]
	v_add_f64 v[0:1], v[140:141], v[0:1]
	v_fma_f64 v[140:141], v[185:186], s[8:9], -v[193:194]
	v_add_f64 v[2:3], v[140:141], v[2:3]
	v_fma_f64 v[140:141], v[187:188], s[8:9], v[195:196]
	v_add_f64 v[0:1], v[140:141], v[0:1]
	v_fma_f64 v[140:141], v[211:212], s[2:3], -v[197:198]
	v_add_f64 v[140:141], v[140:141], v[2:3]
	v_fma_f64 v[2:3], v[217:218], s[2:3], v[199:200]
	v_add_f64 v[142:143], v[2:3], v[0:1]
	v_fma_f64 v[0:1], v[84:85], s[10:11], v[4:5]
	v_fma_f64 v[4:5], v[144:145], s[16:17], v[189:190]
	v_fma_f64 v[2:3], v[86:87], s[10:11], -v[6:7]
	v_fma_f64 v[6:7], v[146:147], s[16:17], -v[191:192]
	v_add_f64 v[0:1], v[0:1], v[80:81]
	v_fma_f64 v[80:81], v[185:186], s[8:9], v[193:194]
	v_add_f64 v[2:3], v[2:3], v[82:83]
	v_fma_f64 v[82:83], v[187:188], s[8:9], -v[195:196]
	v_add_f64 v[0:1], v[4:5], v[0:1]
	v_fma_f64 v[4:5], v[211:212], s[2:3], v[197:198]
	v_add_f64 v[2:3], v[6:7], v[2:3]
	v_fma_f64 v[6:7], v[217:218], s[2:3], -v[199:200]
	v_add_f64 v[0:1], v[80:81], v[0:1]
	v_add_f64 v[2:3], v[82:83], v[2:3]
	v_add_f64 v[144:145], v[4:5], v[0:1]
	v_add_f64 v[0:1], v[181:182], v[136:137]
	v_add_f64 v[146:147], v[6:7], v[2:3]
	v_add_f64 v[2:3], v[183:184], v[138:139]
	v_add_f64 v[0:1], v[0:1], v[148:149]
	v_add_f64 v[2:3], v[2:3], v[150:151]
	v_add_f64 v[0:1], v[0:1], v[152:153]
	v_add_f64 v[2:3], v[2:3], v[154:155]
	v_add_f64 v[0:1], v[0:1], v[156:157]
	v_add_f64 v[2:3], v[2:3], v[158:159]
	v_add_f64 v[0:1], v[0:1], v[161:162]
	v_add_f64 v[2:3], v[2:3], v[163:164]
	v_add_f64 v[0:1], v[0:1], v[165:166]
	v_add_f64 v[2:3], v[2:3], v[167:168]
	v_add_f64 v[0:1], v[0:1], v[169:170]
	v_add_f64 v[2:3], v[2:3], v[171:172]
	v_add_f64 v[0:1], v[0:1], v[173:174]
	v_add_f64 v[2:3], v[2:3], v[175:176]
	v_add_f64 v[136:137], v[0:1], v[179:180]
	buffer_load_dword v0, off, s[48:51], 0 offset:8 ; 4-byte Folded Reload
	v_add_f64 v[138:139], v[2:3], v[177:178]
	s_waitcnt vmcnt(0)
	v_lshl_add_u32 v160, v160, 4, v0
	ds_write_b128 v160, v[112:115] offset:1040
	ds_write_b128 v160, v[120:123] offset:2080
	;; [unrolled: 1-line block ×10, first 2 shown]
	ds_write_b128 v160, v[136:139]
	s_waitcnt lgkmcnt(0)
	s_barrier
	buffer_gl0_inv
	s_and_saveexec_b32 s2, vcc_lo
	s_cbranch_execz .LBB0_13
; %bb.12:
	buffer_load_dword v0, off, s[48:51], 0 offset:4 ; 4-byte Folded Reload
	s_waitcnt vmcnt(0)
	v_add_co_u32 v177, s1, s14, v0
	v_add_co_ci_u32_e64 v178, null, s15, 0, s1
	v_add_co_u32 v0, s1, 0x2800, v177
	v_add_co_ci_u32_e64 v1, s1, 0, v178, s1
	v_add_co_u32 v80, s1, 0x2cb0, v177
	v_add_co_ci_u32_e64 v81, s1, 0, v178, s1
	global_load_dwordx4 v[0:3], v[0:1], off offset:1200
	v_add_co_u32 v84, s1, 0x3000, v177
	s_clause 0x1
	global_load_dwordx4 v[4:7], v[80:81], off offset:880
	global_load_dwordx4 v[80:83], v[80:81], off offset:1760
	v_add_co_ci_u32_e64 v85, s1, 0, v178, s1
	v_add_co_u32 v152, s1, 0x3800, v177
	v_add_co_ci_u32_e64 v153, s1, 0, v178, s1
	global_load_dwordx4 v[84:87], v[84:85], off offset:1792
	v_add_co_u32 v161, s1, 0x4000, v177
	global_load_dwordx4 v[148:151], v[152:153], off offset:624
	v_add_co_ci_u32_e64 v162, s1, 0, v178, s1
	s_clause 0x2
	global_load_dwordx4 v[152:155], v[152:153], off offset:1504
	global_load_dwordx4 v[156:159], v[161:162], off offset:336
	;; [unrolled: 1-line block ×3, first 2 shown]
	v_add_co_u32 v173, s1, 0x4800, v177
	v_add_co_ci_u32_e64 v174, s1, 0, v178, s1
	s_clause 0x2
	global_load_dwordx4 v[165:168], v[173:174], off offset:48
	global_load_dwordx4 v[169:172], v[173:174], off offset:928
	global_load_dwordx4 v[173:176], v[173:174], off offset:1808
	v_add_co_u32 v181, s1, 0x5000, v177
	v_add_co_ci_u32_e64 v182, s1, 0, v178, s1
	s_clause 0x1
	global_load_dwordx4 v[177:180], v[181:182], off offset:640
	global_load_dwordx4 v[181:184], v[181:182], off offset:1520
	ds_read_b128 v[185:188], v160
	ds_read_b128 v[189:192], v160 offset:880
	ds_read_b128 v[193:196], v160 offset:1760
	s_waitcnt vmcnt(12) lgkmcnt(2)
	v_mul_f64 v[197:198], v[187:188], v[2:3]
	v_mul_f64 v[2:3], v[185:186], v[2:3]
	s_waitcnt vmcnt(11) lgkmcnt(1)
	v_mul_f64 v[199:200], v[191:192], v[6:7]
	v_mul_f64 v[6:7], v[189:190], v[6:7]
	v_fma_f64 v[185:186], v[185:186], v[0:1], -v[197:198]
	v_fma_f64 v[187:188], v[187:188], v[0:1], v[2:3]
	ds_read_b128 v[0:3], v160 offset:2640
	s_waitcnt vmcnt(10) lgkmcnt(1)
	v_mul_f64 v[197:198], v[195:196], v[82:83]
	v_mul_f64 v[82:83], v[193:194], v[82:83]
	v_fma_f64 v[189:190], v[189:190], v[4:5], -v[199:200]
	v_fma_f64 v[191:192], v[191:192], v[4:5], v[6:7]
	ds_read_b128 v[4:7], v160 offset:3520
	;; [unrolled: 6-line block ×10, first 2 shown]
	s_waitcnt vmcnt(1) lgkmcnt(1)
	v_mul_f64 v[199:200], v[167:168], v[179:180]
	v_mul_f64 v[179:180], v[165:166], v[179:180]
	v_fma_f64 v[161:162], v[161:162], v[173:174], -v[197:198]
	v_fma_f64 v[163:164], v[163:164], v[173:174], v[175:176]
	s_waitcnt vmcnt(0) lgkmcnt(0)
	v_mul_f64 v[173:174], v[171:172], v[183:184]
	v_mul_f64 v[175:176], v[169:170], v[183:184]
	v_fma_f64 v[165:166], v[165:166], v[177:178], -v[199:200]
	v_fma_f64 v[167:168], v[167:168], v[177:178], v[179:180]
	v_fma_f64 v[169:170], v[169:170], v[181:182], -v[173:174]
	v_fma_f64 v[171:172], v[171:172], v[181:182], v[175:176]
	ds_write_b128 v160, v[185:188]
	ds_write_b128 v160, v[189:192] offset:880
	ds_write_b128 v160, v[193:196] offset:1760
	;; [unrolled: 1-line block ×12, first 2 shown]
.LBB0_13:
	s_or_b32 exec_lo, exec_lo, s2
	s_waitcnt lgkmcnt(0)
	s_barrier
	buffer_gl0_inv
	s_and_saveexec_b32 s1, vcc_lo
	s_cbranch_execz .LBB0_15
; %bb.14:
	ds_read_b128 v[136:139], v160
	ds_read_b128 v[112:115], v160 offset:880
	ds_read_b128 v[120:123], v160 offset:1760
	;; [unrolled: 1-line block ×12, first 2 shown]
.LBB0_15:
	s_or_b32 exec_lo, exec_lo, s1
	s_waitcnt lgkmcnt(0)
	v_add_f64 v[177:178], v[114:115], -v[98:99]
	s_mov_b32 s24, 0x4267c47c
	s_mov_b32 s25, 0xbfddbe06
	v_add_f64 v[163:164], v[122:123], -v[102:103]
	s_mov_b32 s8, 0x42a4c3d2
	s_mov_b32 s9, 0xbfea55e2
	v_add_f64 v[175:176], v[112:113], v[96:97]
	v_add_f64 v[221:222], v[114:115], v[98:99]
	s_mov_b32 s2, 0xe00740e9
	s_mov_b32 s3, 0x3fec55a7
	v_add_f64 v[161:162], v[120:121], v[100:101]
	v_add_f64 v[217:218], v[112:113], -v[96:97]
	s_mov_b32 s10, 0x1ea71119
	s_mov_b32 s11, 0x3fe22d96
	v_add_f64 v[167:168], v[122:123], v[102:103]
	v_add_f64 v[181:182], v[120:121], -v[100:101]
	v_add_f64 v[169:170], v[126:127], -v[106:107]
	s_mov_b32 s22, 0x66966769
	s_mov_b32 s23, 0xbfefc445
	v_add_f64 v[165:166], v[124:125], v[104:105]
	s_mov_b32 s16, 0xebaa3ed8
	s_mov_b32 s17, 0x3fbedb7d
	v_mul_f64 v[0:1], v[177:178], s[24:25]
	v_add_f64 v[173:174], v[126:127], v[106:107]
	v_add_f64 v[183:184], v[124:125], -v[104:105]
	v_mul_f64 v[2:3], v[163:164], s[8:9]
	v_add_f64 v[179:180], v[134:135], -v[110:111]
	s_mov_b32 s20, 0x2ef20147
	s_mov_b32 s21, 0xbfedeba7
	v_mul_f64 v[219:220], v[221:222], s[2:3]
	v_add_f64 v[171:172], v[132:133], v[108:109]
	v_add_f64 v[187:188], v[134:135], v[110:111]
	s_mov_b32 s18, 0xb2365da1
	s_mov_b32 s19, 0xbfd6b1d8
	v_add_f64 v[193:194], v[132:133], -v[108:109]
	v_add_f64 v[189:190], v[142:143], -v[118:119]
	s_mov_b32 s34, 0x24c2f84
	s_mov_b32 s35, 0x3fe5384d
	;; [unrolled: 1-line block ×4, first 2 shown]
	v_add_f64 v[185:186], v[140:141], v[116:117]
	v_add_f64 v[199:200], v[142:143], v[118:119]
	s_mov_b32 s26, 0xd0032e0c
	s_mov_b32 s27, 0xbfe7f3cc
	buffer_store_dword v0, off, s[48:51], 0 offset:100 ; 4-byte Folded Spill
	buffer_store_dword v1, off, s[48:51], 0 offset:104 ; 4-byte Folded Spill
	;; [unrolled: 1-line block ×4, first 2 shown]
	v_add_f64 v[205:206], v[140:141], -v[116:117]
	v_add_f64 v[197:198], v[146:147], -v[130:131]
	s_mov_b32 s31, 0xbfcea1e5
	v_fma_f64 v[4:5], v[217:218], s[24:25], v[219:220]
	s_mov_b32 s30, 0x4bc48dbf
	v_mul_f64 v[223:224], v[187:188], s[18:19]
	v_add_f64 v[195:196], v[144:145], v[128:129]
	v_add_f64 v[201:202], v[146:147], v[130:131]
	s_mov_b32 s28, 0x93053d00
	v_mul_f64 v[225:226], v[189:190], s[38:39]
	s_mov_b32 s29, 0xbfef11f4
	v_add_f64 v[203:204], v[144:145], -v[128:129]
	v_mul_f64 v[215:216], v[177:178], s[8:9]
	v_mul_f64 v[231:232], v[163:164], s[20:21]
	;; [unrolled: 1-line block ×8, first 2 shown]
	s_mov_b32 s41, 0x3fefc445
	s_mov_b32 s40, s22
	v_mul_f64 v[251:252], v[199:200], s[16:17]
	v_mul_f64 v[227:228], v[197:198], s[30:31]
	v_mul_f64 v[241:242], v[189:190], s[40:41]
	s_mov_b32 s37, 0x3fddbe06
	s_mov_b32 s36, s24
	v_mul_f64 v[245:246], v[163:164], s[30:31]
	v_mul_f64 v[243:244], v[197:198], s[36:37]
	;; [unrolled: 1-line block ×5, first 2 shown]
	s_mov_b32 s43, 0x3fedeba7
	s_mov_b32 s42, s20
	v_mul_f64 v[211:212], v[179:180], s[36:37]
	v_mul_f64 v[191:192], v[169:170], s[42:43]
	v_fma_f64 v[6:7], v[181:182], s[20:21], v[239:240]
	v_mul_f64 v[213:214], v[199:200], s[10:11]
	v_mul_f64 v[207:208], v[197:198], s[38:39]
	v_fma_f64 v[82:83], v[181:182], s[30:31], v[209:210]
	v_fma_f64 v[0:1], v[175:176], s[2:3], -v[0:1]
	v_fma_f64 v[2:3], v[161:162], s[10:11], -v[2:3]
	v_add_f64 v[0:1], v[136:137], v[0:1]
	v_add_f64 v[0:1], v[2:3], v[0:1]
	;; [unrolled: 1-line block ×3, first 2 shown]
	v_mul_f64 v[4:5], v[167:168], s[10:11]
	buffer_store_dword v4, off, s[48:51], 0 offset:116 ; 4-byte Folded Spill
	buffer_store_dword v5, off, s[48:51], 0 offset:120 ; 4-byte Folded Spill
	v_fma_f64 v[4:5], v[181:182], s[8:9], v[4:5]
	v_add_f64 v[2:3], v[4:5], v[2:3]
	v_mul_f64 v[4:5], v[169:170], s[22:23]
	buffer_store_dword v4, off, s[48:51], 0 offset:124 ; 4-byte Folded Spill
	buffer_store_dword v5, off, s[48:51], 0 offset:128 ; 4-byte Folded Spill
	v_fma_f64 v[4:5], v[165:166], s[16:17], -v[4:5]
	v_add_f64 v[0:1], v[4:5], v[0:1]
	v_mul_f64 v[4:5], v[173:174], s[16:17]
	buffer_store_dword v4, off, s[48:51], 0 offset:132 ; 4-byte Folded Spill
	buffer_store_dword v5, off, s[48:51], 0 offset:136 ; 4-byte Folded Spill
	v_fma_f64 v[4:5], v[183:184], s[22:23], v[4:5]
	v_add_f64 v[2:3], v[4:5], v[2:3]
	v_mul_f64 v[4:5], v[179:180], s[20:21]
	buffer_store_dword v4, off, s[48:51], 0 offset:140 ; 4-byte Folded Spill
	buffer_store_dword v5, off, s[48:51], 0 offset:144 ; 4-byte Folded Spill
	s_waitcnt_vscnt null, 0x0
	s_barrier
	buffer_gl0_inv
	v_fma_f64 v[4:5], v[171:172], s[18:19], -v[4:5]
	v_add_f64 v[0:1], v[4:5], v[0:1]
	v_fma_f64 v[4:5], v[193:194], s[20:21], v[223:224]
	v_add_f64 v[2:3], v[4:5], v[2:3]
	v_fma_f64 v[4:5], v[185:186], s[26:27], -v[225:226]
	v_add_f64 v[0:1], v[4:5], v[0:1]
	v_fma_f64 v[4:5], v[205:206], s[38:39], v[229:230]
	v_add_f64 v[2:3], v[4:5], v[2:3]
	v_fma_f64 v[4:5], v[195:196], s[28:29], -v[227:228]
	v_add_f64 v[152:153], v[4:5], v[0:1]
	v_fma_f64 v[0:1], v[203:204], s[30:31], v[235:236]
	v_add_f64 v[154:155], v[0:1], v[2:3]
	v_fma_f64 v[0:1], v[175:176], s[10:11], -v[215:216]
	v_fma_f64 v[2:3], v[161:162], s[18:19], -v[231:232]
	v_add_f64 v[0:1], v[136:137], v[0:1]
	v_add_f64 v[2:3], v[2:3], v[0:1]
	v_mul_f64 v[0:1], v[221:222], s[10:11]
	v_fma_f64 v[4:5], v[217:218], s[8:9], v[0:1]
	v_add_f64 v[4:5], v[138:139], v[4:5]
	v_add_f64 v[4:5], v[6:7], v[4:5]
	v_fma_f64 v[6:7], v[165:166], s[28:29], -v[233:234]
	v_add_f64 v[2:3], v[6:7], v[2:3]
	v_fma_f64 v[6:7], v[183:184], s[30:31], v[247:248]
	v_add_f64 v[4:5], v[6:7], v[4:5]
	v_fma_f64 v[6:7], v[171:172], s[26:27], -v[237:238]
	v_add_f64 v[2:3], v[6:7], v[2:3]
	v_fma_f64 v[6:7], v[193:194], s[34:35], v[249:250]
	;; [unrolled: 4-line block ×4, first 2 shown]
	v_fma_f64 v[6:7], v[161:162], s[28:29], -v[245:246]
	v_add_f64 v[158:159], v[2:3], v[4:5]
	v_mul_f64 v[2:3], v[177:178], s[22:23]
	v_fma_f64 v[4:5], v[175:176], s[16:17], -v[2:3]
	v_add_f64 v[4:5], v[136:137], v[4:5]
	v_add_f64 v[6:7], v[6:7], v[4:5]
	v_mul_f64 v[4:5], v[221:222], s[16:17]
	v_fma_f64 v[80:81], v[217:218], s[22:23], v[4:5]
	v_add_f64 v[80:81], v[138:139], v[80:81]
	v_add_f64 v[80:81], v[82:83], v[80:81]
	v_fma_f64 v[82:83], v[165:166], s[18:19], -v[191:192]
	v_add_f64 v[6:7], v[82:83], v[6:7]
	v_mul_f64 v[82:83], v[173:174], s[18:19]
	v_fma_f64 v[84:85], v[183:184], s[42:43], v[82:83]
	v_add_f64 v[80:81], v[84:85], v[80:81]
	v_fma_f64 v[84:85], v[171:172], s[2:3], -v[211:212]
	v_add_f64 v[6:7], v[84:85], v[6:7]
	v_mul_f64 v[84:85], v[187:188], s[2:3]
	v_fma_f64 v[86:87], v[193:194], s[36:37], v[84:85]
	v_add_f64 v[86:87], v[86:87], v[80:81]
	v_mul_f64 v[80:81], v[189:190], s[8:9]
	v_fma_f64 v[148:149], v[185:186], s[10:11], -v[80:81]
	v_add_f64 v[6:7], v[148:149], v[6:7]
	v_fma_f64 v[148:149], v[205:206], s[8:9], v[213:214]
	v_add_f64 v[150:151], v[148:149], v[86:87]
	v_fma_f64 v[86:87], v[195:196], s[26:27], -v[207:208]
	v_add_f64 v[148:149], v[86:87], v[6:7]
	v_mul_f64 v[86:87], v[201:202], s[26:27]
	v_fma_f64 v[6:7], v[203:204], s[38:39], v[86:87]
	v_add_f64 v[150:151], v[6:7], v[150:151]
	s_and_saveexec_b32 s1, vcc_lo
	s_cbranch_execz .LBB0_17
; %bb.16:
	v_add_f64 v[6:7], v[138:139], v[114:115]
	s_clause 0x1
	buffer_load_dword v114, off, s[48:51], 0 offset:100
	buffer_load_dword v115, off, s[48:51], 0 offset:104
	v_add_f64 v[112:113], v[136:137], v[112:113]
	v_add_f64 v[6:7], v[6:7], v[122:123]
	;; [unrolled: 1-line block ×3, first 2 shown]
	v_mul_f64 v[120:121], v[177:178], s[20:21]
	v_add_f64 v[6:7], v[6:7], v[126:127]
	v_add_f64 v[112:113], v[112:113], v[124:125]
	v_fma_f64 v[126:127], v[175:176], s[18:19], v[120:121]
	v_fma_f64 v[120:121], v[175:176], s[18:19], -v[120:121]
	v_add_f64 v[6:7], v[6:7], v[134:135]
	v_add_f64 v[112:113], v[112:113], v[132:133]
	;; [unrolled: 1-line block ×6, first 2 shown]
	v_mul_f64 v[146:147], v[203:204], s[40:41]
	v_add_f64 v[112:113], v[112:113], v[144:145]
	v_add_f64 v[6:7], v[6:7], v[130:131]
	;; [unrolled: 1-line block ×4, first 2 shown]
	v_mul_f64 v[118:119], v[177:178], s[38:39]
	v_add_f64 v[112:113], v[112:113], v[116:117]
	v_mul_f64 v[116:117], v[177:178], s[30:31]
	v_add_f64 v[6:7], v[6:7], v[110:111]
	;; [unrolled: 2-line block ×3, first 2 shown]
	v_mul_f64 v[112:113], v[175:176], s[2:3]
	v_fma_f64 v[122:123], v[175:176], s[28:29], -v[116:117]
	v_fma_f64 v[116:117], v[175:176], s[28:29], v[116:117]
	v_fma_f64 v[124:125], v[175:176], s[26:27], -v[118:119]
	v_fma_f64 v[118:119], v[175:176], s[26:27], v[118:119]
	v_add_f64 v[6:7], v[6:7], v[106:107]
	v_add_f64 v[4:5], v[4:5], -v[110:111]
	v_add_f64 v[104:105], v[108:109], v[104:105]
	v_mul_f64 v[110:111], v[175:176], s[16:17]
	v_mul_f64 v[106:107], v[217:218], s[20:21]
	v_add_f64 v[122:123], v[136:137], v[122:123]
	v_add_f64 v[116:117], v[136:137], v[116:117]
	v_add_f64 v[124:125], v[136:137], v[124:125]
	v_add_f64 v[118:119], v[136:137], v[118:119]
	v_add_f64 v[6:7], v[6:7], v[102:103]
	v_mul_f64 v[102:103], v[217:218], s[38:39]
	v_add_f64 v[100:101], v[104:105], v[100:101]
	v_add_f64 v[2:3], v[110:111], v[2:3]
	v_mul_f64 v[110:111], v[217:218], s[8:9]
	v_add_f64 v[134:135], v[138:139], v[4:5]
	v_mul_f64 v[4:5], v[181:182], s[36:37]
	v_fma_f64 v[108:109], v[221:222], s[18:19], v[106:107]
	v_fma_f64 v[106:107], v[221:222], s[18:19], -v[106:107]
	v_add_f64 v[98:99], v[6:7], v[98:99]
	v_mul_f64 v[6:7], v[217:218], s[30:31]
	v_add_f64 v[96:97], v[100:101], v[96:97]
	v_fma_f64 v[104:105], v[221:222], s[26:27], v[102:103]
	v_add_f64 v[0:1], v[0:1], -v[110:111]
	v_mul_f64 v[110:111], v[217:218], s[24:25]
	v_fma_f64 v[102:103], v[221:222], s[26:27], -v[102:103]
	s_mov_b32 s25, 0x3fea55e2
	v_add_f64 v[132:133], v[138:139], v[106:107]
	s_mov_b32 s24, s8
	v_add_f64 v[108:109], v[138:139], v[108:109]
	v_fma_f64 v[100:101], v[221:222], s[28:29], v[6:7]
	v_fma_f64 v[6:7], v[221:222], s[28:29], -v[6:7]
	v_add_f64 v[128:129], v[138:139], v[104:105]
	v_add_f64 v[104:105], v[138:139], v[0:1]
	v_fma_f64 v[0:1], v[167:168], s[2:3], v[4:5]
	v_add_f64 v[110:111], v[219:220], -v[110:111]
	v_add_f64 v[130:131], v[138:139], v[102:103]
	v_fma_f64 v[4:5], v[167:168], s[2:3], -v[4:5]
	v_add_f64 v[100:101], v[138:139], v[100:101]
	v_add_f64 v[6:7], v[138:139], v[6:7]
	;; [unrolled: 1-line block ×4, first 2 shown]
	v_mul_f64 v[100:101], v[163:164], s[36:37]
	v_add_f64 v[4:5], v[4:5], v[6:7]
	s_waitcnt vmcnt(0)
	v_add_f64 v[112:113], v[112:113], v[114:115]
	v_mul_f64 v[114:115], v[175:176], s[10:11]
	v_mul_f64 v[175:176], v[197:198], s[40:41]
	v_fma_f64 v[6:7], v[161:162], s[2:3], v[100:101]
	v_add_f64 v[106:107], v[136:137], v[112:113]
	v_add_f64 v[112:113], v[136:137], v[2:3]
	v_fma_f64 v[2:3], v[161:162], s[2:3], -v[100:101]
	v_add_f64 v[114:115], v[114:115], v[215:216]
	v_add_f64 v[6:7], v[6:7], v[116:117]
	v_fma_f64 v[116:117], v[195:196], s[16:17], v[175:176]
	v_add_f64 v[2:3], v[2:3], v[122:123]
	v_mul_f64 v[122:123], v[183:184], s[38:39]
	v_add_f64 v[110:111], v[136:137], v[114:115]
	v_add_f64 v[114:115], v[136:137], v[126:127]
	v_fma_f64 v[126:127], v[173:174], s[26:27], v[122:123]
	v_fma_f64 v[100:101], v[173:174], s[26:27], -v[122:123]
	v_add_f64 v[0:1], v[126:127], v[0:1]
	v_mul_f64 v[126:127], v[169:170], s[38:39]
	v_add_f64 v[4:5], v[100:101], v[4:5]
	v_fma_f64 v[136:137], v[165:166], s[26:27], -v[126:127]
	v_fma_f64 v[100:101], v[165:166], s[26:27], v[126:127]
	v_add_f64 v[2:3], v[136:137], v[2:3]
	v_mul_f64 v[136:137], v[193:194], s[24:25]
	v_add_f64 v[6:7], v[100:101], v[6:7]
	v_fma_f64 v[138:139], v[187:188], s[10:11], v[136:137]
	v_fma_f64 v[100:101], v[187:188], s[10:11], -v[136:137]
	v_add_f64 v[0:1], v[138:139], v[0:1]
	v_mul_f64 v[138:139], v[179:180], s[24:25]
	v_add_f64 v[4:5], v[100:101], v[4:5]
	v_fma_f64 v[140:141], v[171:172], s[10:11], -v[138:139]
	v_fma_f64 v[100:101], v[171:172], s[10:11], v[138:139]
	v_mul_f64 v[138:139], v[171:172], s[18:19]
	v_add_f64 v[2:3], v[140:141], v[2:3]
	v_mul_f64 v[140:141], v[205:206], s[20:21]
	v_add_f64 v[6:7], v[100:101], v[6:7]
	v_fma_f64 v[142:143], v[199:200], s[18:19], v[140:141]
	v_fma_f64 v[100:101], v[199:200], s[18:19], -v[140:141]
	v_add_f64 v[0:1], v[142:143], v[0:1]
	v_mul_f64 v[142:143], v[189:190], s[20:21]
	v_add_f64 v[4:5], v[100:101], v[4:5]
	v_fma_f64 v[100:101], v[185:186], s[18:19], v[142:143]
	v_fma_f64 v[144:145], v[185:186], s[18:19], -v[142:143]
	v_add_f64 v[100:101], v[100:101], v[6:7]
	v_fma_f64 v[6:7], v[201:202], s[16:17], -v[146:147]
	v_add_f64 v[144:145], v[144:145], v[2:3]
	v_fma_f64 v[2:3], v[201:202], s[16:17], v[146:147]
	v_add_f64 v[6:7], v[6:7], v[4:5]
	v_add_f64 v[4:5], v[116:117], v[100:101]
	s_clause 0x9
	buffer_load_dword v116, off, s[48:51], 0 offset:116
	buffer_load_dword v117, off, s[48:51], 0 offset:120
	;; [unrolled: 1-line block ×10, first 2 shown]
	v_mul_f64 v[100:101], v[181:182], s[8:9]
	v_add_f64 v[2:3], v[2:3], v[0:1]
	v_fma_f64 v[0:1], v[195:196], s[16:17], -v[175:176]
	v_add_f64 v[0:1], v[0:1], v[144:145]
	s_waitcnt vmcnt(8)
	v_add_f64 v[100:101], v[116:117], -v[100:101]
	v_mul_f64 v[116:117], v[161:162], s[10:11]
	s_waitcnt vmcnt(0)
	v_add_f64 v[138:139], v[138:139], v[140:141]
	v_mul_f64 v[140:141], v[205:206], s[38:39]
	v_add_f64 v[100:101], v[100:101], v[102:103]
	v_add_f64 v[116:117], v[116:117], v[122:123]
	v_mul_f64 v[122:123], v[183:184], s[22:23]
	v_add_f64 v[140:141], v[229:230], -v[140:141]
	v_add_f64 v[102:103], v[116:117], v[106:107]
	v_add_f64 v[122:123], v[126:127], -v[122:123]
	v_mul_f64 v[126:127], v[165:166], s[16:17]
	v_mul_f64 v[106:107], v[185:186], s[26:27]
	v_mul_f64 v[116:117], v[203:204], s[30:31]
	v_add_f64 v[100:101], v[122:123], v[100:101]
	v_add_f64 v[126:127], v[126:127], v[136:137]
	v_mul_f64 v[136:137], v[193:194], s[20:21]
	v_add_f64 v[106:107], v[106:107], v[225:226]
	v_mul_f64 v[122:123], v[195:196], s[28:29]
	v_add_f64 v[116:117], v[235:236], -v[116:117]
	v_add_f64 v[102:103], v[126:127], v[102:103]
	v_add_f64 v[136:137], v[223:224], -v[136:137]
	v_mul_f64 v[126:127], v[165:166], s[28:29]
	v_add_f64 v[122:123], v[122:123], v[227:228]
	v_add_f64 v[102:103], v[138:139], v[102:103]
	;; [unrolled: 1-line block ×3, first 2 shown]
	v_mul_f64 v[136:137], v[193:194], s[34:35]
	v_add_f64 v[126:127], v[126:127], v[233:234]
	v_mul_f64 v[138:139], v[171:172], s[26:27]
	v_add_f64 v[106:107], v[106:107], v[102:103]
	v_add_f64 v[100:101], v[140:141], v[100:101]
	v_add_f64 v[136:137], v[249:250], -v[136:137]
	v_mul_f64 v[140:141], v[205:206], s[40:41]
	v_add_f64 v[138:139], v[138:139], v[237:238]
	v_add_f64 v[102:103], v[116:117], v[100:101]
	;; [unrolled: 1-line block ×3, first 2 shown]
	v_mul_f64 v[106:107], v[181:182], s[20:21]
	v_mul_f64 v[116:117], v[161:162], s[18:19]
	;; [unrolled: 1-line block ×3, first 2 shown]
	v_add_f64 v[140:141], v[251:252], -v[140:141]
	v_add_f64 v[106:107], v[239:240], -v[106:107]
	v_add_f64 v[116:117], v[116:117], v[231:232]
	v_add_f64 v[122:123], v[247:248], -v[122:123]
	v_add_f64 v[104:105], v[106:107], v[104:105]
	v_add_f64 v[106:107], v[116:117], v[110:111]
	v_mul_f64 v[110:111], v[185:186], s[16:17]
	v_mul_f64 v[116:117], v[203:204], s[36:37]
	v_add_f64 v[104:105], v[122:123], v[104:105]
	v_add_f64 v[106:107], v[126:127], v[106:107]
	;; [unrolled: 1-line block ×3, first 2 shown]
	v_add_f64 v[116:117], v[253:254], -v[116:117]
	v_mul_f64 v[122:123], v[195:196], s[2:3]
	v_mul_f64 v[126:127], v[193:194], s[36:37]
	v_add_f64 v[104:105], v[136:137], v[104:105]
	v_add_f64 v[106:107], v[138:139], v[106:107]
	v_mul_f64 v[138:139], v[185:186], s[10:11]
	v_mul_f64 v[136:137], v[205:206], s[8:9]
	v_add_f64 v[122:123], v[122:123], v[243:244]
	v_add_f64 v[84:85], v[84:85], -v[126:127]
	v_mul_f64 v[126:127], v[171:172], s[2:3]
	v_add_f64 v[104:105], v[140:141], v[104:105]
	v_add_f64 v[110:111], v[110:111], v[106:107]
	;; [unrolled: 1-line block ×3, first 2 shown]
	v_add_f64 v[136:137], v[213:214], -v[136:137]
	v_mul_f64 v[138:139], v[203:204], s[38:39]
	v_add_f64 v[126:127], v[126:127], v[211:212]
	v_add_f64 v[106:107], v[116:117], v[104:105]
	v_mul_f64 v[116:117], v[161:162], s[28:29]
	v_add_f64 v[104:105], v[122:123], v[110:111]
	v_mul_f64 v[110:111], v[181:182], s[30:31]
	v_mul_f64 v[122:123], v[183:184], s[42:43]
	s_mov_b32 s31, 0x3fcea1e5
	v_add_f64 v[86:87], v[86:87], -v[138:139]
	v_mul_f64 v[138:139], v[195:196], s[26:27]
	v_add_f64 v[116:117], v[116:117], v[245:246]
	v_add_f64 v[110:111], v[209:210], -v[110:111]
	v_add_f64 v[82:83], v[82:83], -v[122:123]
	v_mul_f64 v[122:123], v[165:166], s[18:19]
	v_add_f64 v[138:139], v[138:139], v[207:208]
	v_add_f64 v[112:113], v[116:117], v[112:113]
	v_mul_f64 v[116:117], v[181:182], s[34:35]
	v_add_f64 v[110:111], v[110:111], v[134:135]
	v_add_f64 v[122:123], v[122:123], v[191:192]
	v_fma_f64 v[134:135], v[167:168], s[26:27], -v[116:117]
	v_add_f64 v[82:83], v[82:83], v[110:111]
	v_fma_f64 v[116:117], v[167:168], s[26:27], v[116:117]
	v_add_f64 v[110:111], v[122:123], v[112:113]
	v_mul_f64 v[112:113], v[183:184], s[36:37]
	v_add_f64 v[132:133], v[134:135], v[132:133]
	v_mul_f64 v[134:135], v[163:164], s[34:35]
	v_add_f64 v[82:83], v[84:85], v[82:83]
	v_add_f64 v[84:85], v[126:127], v[110:111]
	v_fma_f64 v[122:123], v[173:174], s[2:3], -v[112:113]
	v_mul_f64 v[110:111], v[193:194], s[22:23]
	v_fma_f64 v[112:113], v[173:174], s[2:3], v[112:113]
	v_add_f64 v[108:109], v[116:117], v[108:109]
	v_fma_f64 v[140:141], v[161:162], s[26:27], v[134:135]
	v_add_f64 v[82:83], v[136:137], v[82:83]
	v_add_f64 v[80:81], v[80:81], v[84:85]
	;; [unrolled: 1-line block ×3, first 2 shown]
	v_mul_f64 v[132:133], v[169:170], s[36:37]
	v_fma_f64 v[126:127], v[187:188], s[16:17], -v[110:111]
	v_mul_f64 v[84:85], v[205:206], s[30:31]
	v_fma_f64 v[134:135], v[161:162], s[26:27], -v[134:135]
	v_add_f64 v[108:109], v[112:113], v[108:109]
	v_fma_f64 v[110:111], v[187:188], s[16:17], v[110:111]
	v_add_f64 v[114:115], v[140:141], v[114:115]
	v_mul_f64 v[140:141], v[181:182], s[40:41]
	v_add_f64 v[82:83], v[86:87], v[82:83]
	v_add_f64 v[80:81], v[138:139], v[80:81]
	;; [unrolled: 1-line block ×3, first 2 shown]
	v_mul_f64 v[126:127], v[179:180], s[22:23]
	v_fma_f64 v[136:137], v[199:200], s[28:29], -v[84:85]
	v_add_f64 v[120:121], v[134:135], v[120:121]
	v_add_f64 v[108:109], v[110:111], v[108:109]
	v_fma_f64 v[84:85], v[199:200], s[28:29], v[84:85]
	v_fma_f64 v[142:143], v[167:168], s[16:17], v[140:141]
	v_fma_f64 v[140:141], v[167:168], s[16:17], -v[140:141]
	v_add_f64 v[122:123], v[136:137], v[122:123]
	v_mul_f64 v[136:137], v[189:190], s[30:31]
	v_add_f64 v[128:129], v[142:143], v[128:129]
	v_mul_f64 v[142:143], v[163:164], s[40:41]
	;; [unrolled: 2-line block ×3, first 2 shown]
	v_fma_f64 v[144:145], v[161:162], s[16:17], -v[142:143]
	v_add_f64 v[124:125], v[144:145], v[124:125]
	v_fma_f64 v[144:145], v[165:166], s[2:3], v[132:133]
	v_add_f64 v[114:115], v[144:145], v[114:115]
	v_fma_f64 v[144:145], v[171:172], s[16:17], v[126:127]
	;; [unrolled: 2-line block ×4, first 2 shown]
	v_fma_f64 v[140:141], v[173:174], s[10:11], -v[140:141]
	v_add_f64 v[128:129], v[144:145], v[128:129]
	v_add_f64 v[130:131], v[140:141], v[130:131]
	v_fma_f64 v[140:141], v[161:162], s[16:17], v[142:143]
	v_mul_f64 v[144:145], v[169:170], s[8:9]
	v_add_f64 v[118:119], v[140:141], v[118:119]
	v_mul_f64 v[140:141], v[193:194], s[30:31]
	v_fma_f64 v[146:147], v[165:166], s[10:11], -v[144:145]
	v_fma_f64 v[142:143], v[187:188], s[28:29], v[140:141]
	v_fma_f64 v[140:141], v[187:188], s[28:29], -v[140:141]
	v_add_f64 v[124:125], v[146:147], v[124:125]
	v_add_f64 v[128:129], v[142:143], v[128:129]
	;; [unrolled: 1-line block ×3, first 2 shown]
	v_fma_f64 v[140:141], v[165:166], s[10:11], v[144:145]
	v_mul_f64 v[142:143], v[179:180], s[30:31]
	v_add_f64 v[118:119], v[140:141], v[118:119]
	v_mul_f64 v[140:141], v[205:206], s[36:37]
	v_fma_f64 v[112:113], v[171:172], s[28:29], v[142:143]
	v_fma_f64 v[146:147], v[171:172], s[28:29], -v[142:143]
	v_fma_f64 v[116:117], v[199:200], s[2:3], -v[140:141]
	v_add_f64 v[112:113], v[112:113], v[118:119]
	v_fma_f64 v[118:119], v[171:172], s[16:17], -v[126:127]
	v_fma_f64 v[144:145], v[199:200], s[2:3], v[140:141]
	v_fma_f64 v[126:127], v[185:186], s[28:29], -v[136:137]
	v_mul_f64 v[136:137], v[197:198], s[24:25]
	v_add_f64 v[124:125], v[146:147], v[124:125]
	v_add_f64 v[140:141], v[84:85], v[108:109]
	;; [unrolled: 1-line block ×3, first 2 shown]
	v_fma_f64 v[130:131], v[165:166], s[2:3], -v[132:133]
	v_mul_f64 v[132:133], v[203:204], s[20:21]
	v_add_f64 v[128:129], v[144:145], v[128:129]
	v_mul_f64 v[144:145], v[189:190], s[36:37]
	v_fma_f64 v[84:85], v[195:196], s[10:11], v[136:137]
	v_fma_f64 v[136:137], v[195:196], s[10:11], -v[136:137]
	v_add_f64 v[120:121], v[130:131], v[120:121]
	v_mul_f64 v[130:131], v[203:204], s[24:25]
	v_fma_f64 v[134:135], v[201:202], s[18:19], v[132:133]
	v_fma_f64 v[110:111], v[185:186], s[2:3], v[144:145]
	v_fma_f64 v[146:147], v[185:186], s[2:3], -v[144:145]
	v_add_f64 v[84:85], v[84:85], v[114:115]
	v_add_f64 v[118:119], v[118:119], v[120:121]
	v_fma_f64 v[120:121], v[201:202], s[10:11], -v[130:131]
	v_fma_f64 v[130:131], v[201:202], s[10:11], v[130:131]
	v_add_f64 v[112:113], v[110:111], v[112:113]
	v_fma_f64 v[110:111], v[201:202], s[18:19], -v[132:133]
	v_mul_f64 v[132:133], v[197:198], s[20:21]
	v_add_f64 v[124:125], v[146:147], v[124:125]
	v_add_f64 v[114:115], v[134:135], v[128:129]
	;; [unrolled: 1-line block ×4, first 2 shown]
	s_clause 0x1
	buffer_load_dword v120, off, s[48:51], 0 offset:52
	buffer_load_dword v121, off, s[48:51], 0 offset:8
	v_add_f64 v[110:111], v[110:111], v[116:117]
	v_fma_f64 v[108:109], v[195:196], s[18:19], v[132:133]
	v_fma_f64 v[132:133], v[195:196], s[18:19], -v[132:133]
	v_add_f64 v[118:119], v[130:131], v[140:141]
	v_add_f64 v[116:117], v[136:137], v[126:127]
	;; [unrolled: 1-line block ×4, first 2 shown]
	s_waitcnt vmcnt(1)
	v_and_b32_e32 v120, 0xffff, v120
	s_waitcnt vmcnt(0)
	v_lshl_add_u32 v120, v120, 4, v121
	ds_write_b128 v120, v[96:99]
	ds_write_b128 v120, v[100:103] offset:16
	ds_write_b128 v120, v[104:107] offset:32
	ds_write_b128 v120, v[80:83] offset:48
	ds_write_b128 v120, v[84:87] offset:64
	ds_write_b128 v120, v[108:111] offset:80
	ds_write_b128 v120, v[4:7] offset:96
	ds_write_b128 v120, v[0:3] offset:112
	ds_write_b128 v120, v[112:115] offset:128
	ds_write_b128 v120, v[116:119] offset:144
	ds_write_b128 v120, v[148:151] offset:160
	ds_write_b128 v120, v[156:159] offset:176
	ds_write_b128 v120, v[152:155] offset:192
.LBB0_17:
	s_or_b32 exec_lo, exec_lo, s1
	s_waitcnt lgkmcnt(0)
	s_barrier
	buffer_gl0_inv
	ds_read_b128 v[100:103], v255
	ds_read_b128 v[96:99], v255 offset:1040
	ds_read_b128 v[124:127], v255 offset:2288
	ds_read_b128 v[104:107], v255 offset:3328
	ds_read_b128 v[128:131], v255 offset:4576
	ds_read_b128 v[108:111], v255 offset:5616
	ds_read_b128 v[120:123], v255 offset:6864
	ds_read_b128 v[112:115], v255 offset:7904
	ds_read_b128 v[132:135], v255 offset:9152
	ds_read_b128 v[116:119], v255 offset:10192
	s_and_saveexec_b32 s1, s0
	s_cbranch_execz .LBB0_19
; %bb.18:
	ds_read_b128 v[148:151], v255 offset:2080
	ds_read_b128 v[156:159], v255 offset:4368
	;; [unrolled: 1-line block ×4, first 2 shown]
	s_waitcnt lgkmcnt(0)
	buffer_store_dword v0, off, s[48:51], 0 offset:20 ; 4-byte Folded Spill
	buffer_store_dword v1, off, s[48:51], 0 offset:24 ; 4-byte Folded Spill
	;; [unrolled: 1-line block ×4, first 2 shown]
	ds_read_b128 v[0:3], v255 offset:11232
	s_waitcnt lgkmcnt(0)
	buffer_store_dword v0, off, s[48:51], 0 offset:36 ; 4-byte Folded Spill
	buffer_store_dword v1, off, s[48:51], 0 offset:40 ; 4-byte Folded Spill
	;; [unrolled: 1-line block ×4, first 2 shown]
.LBB0_19:
	s_or_b32 exec_lo, exec_lo, s1
	s_waitcnt lgkmcnt(7)
	v_mul_f64 v[0:1], v[78:79], v[126:127]
	v_mul_f64 v[2:3], v[78:79], v[124:125]
	s_waitcnt lgkmcnt(5)
	v_mul_f64 v[4:5], v[74:75], v[130:131]
	v_mul_f64 v[6:7], v[74:75], v[128:129]
	s_waitcnt lgkmcnt(3)
	v_mul_f64 v[74:75], v[66:67], v[122:123]
	s_waitcnt lgkmcnt(1)
	v_mul_f64 v[78:79], v[70:71], v[132:133]
	v_mul_f64 v[70:71], v[70:71], v[134:135]
	v_mul_f64 v[66:67], v[66:67], v[120:121]
	v_mul_f64 v[80:81], v[38:39], v[106:107]
	v_mul_f64 v[82:83], v[46:47], v[110:111]
	v_mul_f64 v[84:85], v[50:51], v[114:115]
	v_mul_f64 v[38:39], v[38:39], v[104:105]
	v_mul_f64 v[46:47], v[46:47], v[108:109]
	s_waitcnt lgkmcnt(0)
	v_mul_f64 v[86:87], v[42:43], v[118:119]
	v_mul_f64 v[50:51], v[50:51], v[112:113]
	;; [unrolled: 1-line block ×3, first 2 shown]
	s_mov_b32 s8, 0x134454ff
	s_mov_b32 s9, 0xbfee6f0e
	;; [unrolled: 1-line block ×6, first 2 shown]
	v_fma_f64 v[0:1], v[76:77], v[124:125], v[0:1]
	v_fma_f64 v[2:3], v[76:77], v[126:127], -v[2:3]
	v_fma_f64 v[4:5], v[72:73], v[128:129], v[4:5]
	v_fma_f64 v[6:7], v[72:73], v[130:131], -v[6:7]
	;; [unrolled: 2-line block ×4, first 2 shown]
	v_fma_f64 v[76:77], v[36:37], v[104:105], v[80:81]
	v_fma_f64 v[66:67], v[44:45], v[108:109], v[82:83]
	;; [unrolled: 1-line block ×3, first 2 shown]
	v_fma_f64 v[36:37], v[36:37], v[106:107], -v[38:39]
	v_fma_f64 v[44:45], v[44:45], v[110:111], -v[46:47]
	v_fma_f64 v[78:79], v[40:41], v[116:117], v[86:87]
	v_fma_f64 v[46:47], v[48:49], v[114:115], -v[50:51]
	v_fma_f64 v[50:51], v[40:41], v[118:119], -v[42:43]
	s_mov_b32 s11, 0x3fe2cf23
	s_mov_b32 s10, s2
	;; [unrolled: 1-line block ×4, first 2 shown]
	s_waitcnt_vscnt null, 0x0
	s_barrier
	buffer_gl0_inv
	v_add_f64 v[38:39], v[100:101], v[0:1]
	v_add_f64 v[82:83], v[0:1], -v[4:5]
	v_add_f64 v[104:105], v[4:5], -v[0:1]
	v_add_f64 v[40:41], v[4:5], v[72:73]
	v_add_f64 v[42:43], v[2:3], -v[74:75]
	v_add_f64 v[48:49], v[0:1], v[68:69]
	v_add_f64 v[80:81], v[6:7], -v[64:65]
	v_add_f64 v[86:87], v[68:69], -v[72:73]
	;; [unrolled: 1-line block ×3, first 2 shown]
	v_add_f64 v[112:113], v[66:67], v[70:71]
	v_add_f64 v[128:129], v[96:97], v[76:77]
	;; [unrolled: 1-line block ×6, first 2 shown]
	v_add_f64 v[130:131], v[36:37], -v[50:51]
	v_add_f64 v[142:143], v[36:37], -v[44:45]
	;; [unrolled: 1-line block ×3, first 2 shown]
	v_add_f64 v[84:85], v[6:7], v[64:65]
	v_add_f64 v[106:107], v[2:3], v[74:75]
	;; [unrolled: 1-line block ×3, first 2 shown]
	v_add_f64 v[0:1], v[0:1], -v[68:69]
	v_add_f64 v[114:115], v[4:5], -v[72:73]
	;; [unrolled: 1-line block ×4, first 2 shown]
	v_fma_f64 v[40:41], v[40:41], -0.5, v[100:101]
	v_add_f64 v[4:5], v[38:39], v[4:5]
	v_fma_f64 v[48:49], v[48:49], -0.5, v[100:101]
	v_add_f64 v[120:121], v[74:75], -v[64:65]
	v_add_f64 v[82:83], v[82:83], v[86:87]
	v_add_f64 v[104:105], v[104:105], v[108:109]
	v_fma_f64 v[112:113], v[112:113], -0.5, v[96:97]
	v_add_f64 v[124:125], v[64:65], -v[74:75]
	v_add_f64 v[100:101], v[44:45], -v[46:47]
	v_fma_f64 v[96:97], v[118:119], -0.5, v[96:97]
	v_fma_f64 v[118:119], v[122:123], -0.5, v[98:99]
	;; [unrolled: 1-line block ×3, first 2 shown]
	v_add_f64 v[122:123], v[46:47], -v[50:51]
	v_add_f64 v[44:45], v[138:139], v[44:45]
	v_add_f64 v[38:39], v[50:51], -v[46:47]
	v_fma_f64 v[84:85], v[84:85], -0.5, v[102:103]
	v_fma_f64 v[102:103], v[106:107], -0.5, v[102:103]
	v_add_f64 v[6:7], v[110:111], v[6:7]
	v_add_f64 v[132:133], v[76:77], -v[66:67]
	v_add_f64 v[136:137], v[66:67], -v[76:77]
	;; [unrolled: 1-line block ×4, first 2 shown]
	v_fma_f64 v[126:127], v[42:43], s[8:9], v[40:41]
	v_fma_f64 v[40:41], v[42:43], s[16:17], v[40:41]
	v_fma_f64 v[144:145], v[80:81], s[16:17], v[48:49]
	v_fma_f64 v[48:49], v[80:81], s[8:9], v[48:49]
	v_add_f64 v[4:5], v[4:5], v[72:73]
	v_add_f64 v[66:67], v[128:129], v[66:67]
	v_add_f64 v[134:135], v[78:79], -v[70:71]
	v_fma_f64 v[108:109], v[130:131], s[8:9], v[112:113]
	v_add_f64 v[106:107], v[70:71], -v[78:79]
	v_fma_f64 v[128:129], v[100:101], s[16:17], v[96:97]
	v_fma_f64 v[72:73], v[100:101], s[8:9], v[96:97]
	v_fma_f64 v[112:113], v[130:131], s[16:17], v[112:113]
	v_add_f64 v[122:123], v[36:37], v[122:123]
	v_fma_f64 v[110:111], v[0:1], s[16:17], v[84:85]
	v_fma_f64 v[86:87], v[114:115], s[8:9], v[102:103]
	;; [unrolled: 1-line block ×4, first 2 shown]
	v_add_f64 v[6:7], v[6:7], v[64:65]
	v_add_f64 v[64:65], v[116:117], v[120:121]
	;; [unrolled: 1-line block ×3, first 2 shown]
	v_fma_f64 v[126:127], v[80:81], s[2:3], v[126:127]
	v_fma_f64 v[40:41], v[80:81], s[10:11], v[40:41]
	;; [unrolled: 1-line block ×4, first 2 shown]
	v_add_f64 v[120:121], v[142:143], v[38:39]
	v_fma_f64 v[96:97], v[76:77], s[16:17], v[118:119]
	v_fma_f64 v[138:139], v[140:141], s[8:9], v[98:99]
	v_fma_f64 v[98:99], v[140:141], s[16:17], v[98:99]
	v_fma_f64 v[118:119], v[76:77], s[8:9], v[118:119]
	v_add_f64 v[66:67], v[66:67], v[70:71]
	v_fma_f64 v[70:71], v[100:101], s[2:3], v[108:109]
	v_add_f64 v[108:109], v[132:133], v[134:135]
	v_fma_f64 v[100:101], v[100:101], s[10:11], v[112:113]
	v_fma_f64 v[112:113], v[130:131], s[2:3], v[128:129]
	v_add_f64 v[106:107], v[136:137], v[106:107]
	v_fma_f64 v[48:49], v[114:115], s[10:11], v[110:111]
	;; [unrolled: 3-line block ×3, first 2 shown]
	v_fma_f64 v[84:85], v[114:115], s[2:3], v[84:85]
	v_add_f64 v[0:1], v[4:5], v[68:69]
	v_add_f64 v[2:3], v[6:7], v[74:75]
	v_fma_f64 v[4:5], v[82:83], s[18:19], v[126:127]
	v_fma_f64 v[36:37], v[82:83], s[18:19], v[40:41]
	v_fma_f64 v[40:41], v[104:105], s[18:19], v[80:81]
	buffer_load_dword v80, off, s[48:51], 0 offset:64 ; 4-byte Folded Reload
	v_fma_f64 v[44:45], v[104:105], s[18:19], v[42:43]
	v_fma_f64 v[96:97], v[140:141], s[10:11], v[96:97]
	;; [unrolled: 1-line block ×6, first 2 shown]
	v_add_f64 v[50:51], v[116:117], v[50:51]
	v_fma_f64 v[68:69], v[108:109], s[18:19], v[100:101]
	v_fma_f64 v[72:73], v[106:107], s[18:19], v[112:113]
	;; [unrolled: 1-line block ×3, first 2 shown]
	v_add_f64 v[48:49], v[66:67], v[78:79]
	v_fma_f64 v[42:43], v[110:111], s[18:19], v[86:87]
	v_fma_f64 v[46:47], v[110:111], s[18:19], v[102:103]
	;; [unrolled: 1-line block ×4, first 2 shown]
	s_waitcnt vmcnt(0)
	ds_write_b128 v80, v[0:3]
	ds_write_b128 v80, v[4:7] offset:208
	ds_write_b128 v80, v[40:43] offset:416
	;; [unrolled: 1-line block ×4, first 2 shown]
	buffer_load_dword v0, off, s[48:51], 0 offset:60 ; 4-byte Folded Reload
	v_fma_f64 v[66:67], v[120:121], s[18:19], v[96:97]
	v_fma_f64 v[74:75], v[122:123], s[18:19], v[124:125]
	;; [unrolled: 1-line block ×5, first 2 shown]
	s_waitcnt vmcnt(0)
	ds_write_b128 v0, v[48:51]
	ds_write_b128 v0, v[64:67] offset:208
	ds_write_b128 v0, v[72:75] offset:416
	ds_write_b128 v0, v[76:79] offset:624
	ds_write_b128 v0, v[68:71] offset:832
	s_and_saveexec_b32 s1, s0
	s_cbranch_execz .LBB0_21
; %bb.20:
	s_clause 0xf
	buffer_load_dword v40, off, s[48:51], 0 offset:68
	buffer_load_dword v41, off, s[48:51], 0 offset:72
	buffer_load_dword v42, off, s[48:51], 0 offset:76
	buffer_load_dword v43, off, s[48:51], 0 offset:80
	buffer_load_dword v44, off, s[48:51], 0 offset:84
	buffer_load_dword v45, off, s[48:51], 0 offset:88
	buffer_load_dword v46, off, s[48:51], 0 offset:92
	buffer_load_dword v47, off, s[48:51], 0 offset:96
	buffer_load_dword v64, off, s[48:51], 0 offset:36
	buffer_load_dword v65, off, s[48:51], 0 offset:40
	buffer_load_dword v66, off, s[48:51], 0 offset:44
	buffer_load_dword v67, off, s[48:51], 0 offset:48
	buffer_load_dword v48, off, s[48:51], 0 offset:20
	buffer_load_dword v49, off, s[48:51], 0 offset:24
	buffer_load_dword v50, off, s[48:51], 0 offset:28
	buffer_load_dword v51, off, s[48:51], 0 offset:32
	v_mul_f64 v[0:1], v[14:15], v[152:153]
	v_mul_f64 v[14:15], v[14:15], v[154:155]
	v_fma_f64 v[0:1], v[12:13], v[154:155], -v[0:1]
	v_fma_f64 v[12:13], v[12:13], v[152:153], v[14:15]
	s_waitcnt vmcnt(12)
	v_mul_f64 v[2:3], v[42:43], v[156:157]
	s_waitcnt vmcnt(6)
	v_mul_f64 v[4:5], v[46:47], v[64:65]
	;; [unrolled: 2-line block ×4, first 2 shown]
	v_mul_f64 v[36:37], v[42:43], v[158:159]
	v_mul_f64 v[38:39], v[46:47], v[66:67]
	v_fma_f64 v[2:3], v[40:41], v[158:159], -v[2:3]
	v_fma_f64 v[4:5], v[44:45], v[66:67], -v[4:5]
	;; [unrolled: 1-line block ×3, first 2 shown]
	v_fma_f64 v[8:9], v[8:9], v[48:49], v[10:11]
	v_fma_f64 v[10:11], v[40:41], v[156:157], v[36:37]
	;; [unrolled: 1-line block ×3, first 2 shown]
	v_add_f64 v[48:49], v[150:151], v[2:3]
	v_add_f64 v[64:65], v[2:3], -v[4:5]
	v_add_f64 v[38:39], v[0:1], v[6:7]
	v_add_f64 v[40:41], v[12:13], v[8:9]
	v_add_f64 v[50:51], v[148:149], v[10:11]
	v_add_f64 v[46:47], v[10:11], -v[14:15]
	v_add_f64 v[36:37], v[2:3], v[4:5]
	v_add_f64 v[42:43], v[10:11], v[14:15]
	v_add_f64 v[44:45], v[12:13], -v[8:9]
	v_add_f64 v[66:67], v[0:1], -v[6:7]
	;; [unrolled: 1-line block ×10, first 2 shown]
	v_add_f64 v[0:1], v[48:49], v[0:1]
	v_fma_f64 v[38:39], v[38:39], -0.5, v[150:151]
	v_fma_f64 v[40:41], v[40:41], -0.5, v[148:149]
	v_add_f64 v[12:13], v[50:51], v[12:13]
	v_fma_f64 v[36:37], v[36:37], -0.5, v[150:151]
	v_fma_f64 v[42:43], v[42:43], -0.5, v[148:149]
	v_add_f64 v[68:69], v[68:69], v[70:71]
	v_add_f64 v[70:71], v[2:3], v[72:73]
	;; [unrolled: 1-line block ×5, first 2 shown]
	v_fma_f64 v[50:51], v[46:47], s[8:9], v[38:39]
	v_fma_f64 v[80:81], v[64:65], s[8:9], v[40:41]
	;; [unrolled: 1-line block ×3, first 2 shown]
	v_add_f64 v[6:7], v[12:13], v[8:9]
	v_fma_f64 v[48:49], v[44:45], s[16:17], v[36:37]
	v_fma_f64 v[36:37], v[44:45], s[8:9], v[36:37]
	;; [unrolled: 1-line block ×5, first 2 shown]
	v_add_f64 v[2:3], v[0:1], v[4:5]
	v_fma_f64 v[12:13], v[44:45], s[2:3], v[50:51]
	v_fma_f64 v[40:41], v[66:67], s[10:11], v[40:41]
	v_add_f64 v[0:1], v[6:7], v[14:15]
	v_fma_f64 v[8:9], v[46:47], s[2:3], v[48:49]
	v_fma_f64 v[10:11], v[46:47], s[10:11], v[36:37]
	v_fma_f64 v[36:37], v[44:45], s[10:11], v[38:39]
	v_fma_f64 v[44:45], v[66:67], s[2:3], v[80:81]
	v_fma_f64 v[46:47], v[64:65], s[2:3], v[82:83]
	v_fma_f64 v[42:43], v[64:65], s[10:11], v[42:43]
	v_fma_f64 v[14:15], v[70:71], s[18:19], v[12:13]
	v_fma_f64 v[12:13], v[74:75], s[18:19], v[40:41]
	s_clause 0x1
	buffer_load_dword v40, off, s[48:51], 0 offset:8
	buffer_load_dword v41, off, s[48:51], 0 offset:56
	v_fma_f64 v[6:7], v[68:69], s[18:19], v[8:9]
	v_fma_f64 v[10:11], v[68:69], s[18:19], v[10:11]
	v_fma_f64 v[38:39], v[70:71], s[18:19], v[36:37]
	v_fma_f64 v[36:37], v[74:75], s[18:19], v[44:45]
	v_fma_f64 v[8:9], v[72:73], s[18:19], v[46:47]
	v_fma_f64 v[4:5], v[72:73], s[18:19], v[42:43]
	s_waitcnt vmcnt(0)
	v_lshl_add_u32 v40, v41, 4, v40
	ds_write_b128 v40, v[0:3] offset:10400
	ds_write_b128 v40, v[36:39] offset:10608
	;; [unrolled: 1-line block ×5, first 2 shown]
.LBB0_21:
	s_or_b32 exec_lo, exec_lo, s1
	s_waitcnt lgkmcnt(0)
	s_barrier
	buffer_gl0_inv
	ds_read_b128 v[4:7], v255 offset:1040
	ds_read_b128 v[0:3], v255
	ds_read_b128 v[8:11], v255 offset:2080
	ds_read_b128 v[12:15], v255 offset:3120
	;; [unrolled: 1-line block ×9, first 2 shown]
	s_mov_b32 s2, 0xf8bb580b
	s_mov_b32 s8, 0x8764f0ba
	;; [unrolled: 1-line block ×9, first 2 shown]
	s_waitcnt lgkmcnt(10)
	v_mul_f64 v[76:77], v[62:63], v[6:7]
	v_mul_f64 v[62:63], v[62:63], v[4:5]
	s_waitcnt lgkmcnt(8)
	v_mul_f64 v[80:81], v[34:35], v[10:11]
	v_mul_f64 v[34:35], v[34:35], v[8:9]
	;; [unrolled: 3-line block ×3, first 2 shown]
	s_mov_b32 s22, 0x640f44db
	s_mov_b32 s21, 0xbfefac9e
	s_waitcnt lgkmcnt(2)
	v_mul_f64 v[86:87], v[58:59], v[66:67]
	v_mul_f64 v[58:59], v[58:59], v[64:65]
	s_waitcnt lgkmcnt(0)
	v_mul_f64 v[78:79], v[94:95], v[72:73]
	v_mul_f64 v[82:83], v[90:91], v[68:69]
	s_mov_b32 s23, 0xbfc2375f
	s_mov_b32 s24, 0xbb3a28a1
	;; [unrolled: 1-line block ×10, first 2 shown]
	v_fma_f64 v[76:77], v[60:61], v[4:5], v[76:77]
	v_fma_f64 v[60:61], v[60:61], v[6:7], -v[62:63]
	v_fma_f64 v[8:9], v[32:33], v[8:9], v[80:81]
	v_fma_f64 v[10:11], v[32:33], v[10:11], -v[34:35]
	v_mul_f64 v[6:7], v[94:95], v[74:75]
	v_mul_f64 v[62:63], v[90:91], v[70:71]
	;; [unrolled: 1-line block ×6, first 2 shown]
	v_fma_f64 v[14:15], v[20:21], v[14:15], -v[22:23]
	v_fma_f64 v[22:23], v[56:57], v[66:67], -v[58:59]
	v_fma_f64 v[12:13], v[20:21], v[12:13], v[84:85]
	v_fma_f64 v[20:21], v[56:57], v[64:65], v[86:87]
	v_fma_f64 v[4:5], v[92:93], v[74:75], -v[78:79]
	v_mul_f64 v[74:75], v[30:31], v[42:43]
	v_mul_f64 v[30:31], v[30:31], v[40:41]
	;; [unrolled: 1-line block ×4, first 2 shown]
	s_mov_b32 s0, s2
	s_mov_b32 s17, 0x3fed1bb4
	;; [unrolled: 1-line block ×3, first 2 shown]
	v_add_f64 v[32:33], v[0:1], v[76:77]
	v_add_f64 v[34:35], v[2:3], v[60:61]
	s_mov_b32 s27, 0x3fefac9e
	s_mov_b32 s39, 0x3fd207e7
	v_fma_f64 v[6:7], v[92:93], v[72:73], v[6:7]
	v_fma_f64 v[62:63], v[88:89], v[68:69], v[62:63]
	;; [unrolled: 1-line block ×3, first 2 shown]
	v_fma_f64 v[16:17], v[16:17], v[38:39], -v[18:19]
	v_fma_f64 v[18:19], v[52:53], v[48:49], v[94:95]
	v_fma_f64 v[38:39], v[52:53], v[50:51], -v[54:55]
	v_fma_f64 v[68:69], v[88:89], v[70:71], -v[82:83]
	v_add_f64 v[54:55], v[14:15], v[22:23]
	v_add_f64 v[58:59], v[14:15], -v[22:23]
	v_add_f64 v[52:53], v[12:13], v[20:21]
	v_add_f64 v[56:57], v[12:13], -v[20:21]
	v_add_f64 v[48:49], v[60:61], -v[4:5]
	v_add_f64 v[50:51], v[60:61], v[4:5]
	v_fma_f64 v[40:41], v[28:29], v[40:41], v[74:75]
	v_fma_f64 v[28:29], v[28:29], v[42:43], -v[30:31]
	v_fma_f64 v[30:31], v[24:25], v[44:45], v[78:79]
	v_fma_f64 v[24:25], v[24:25], v[46:47], -v[26:27]
	s_mov_b32 s26, s20
	v_add_f64 v[32:33], v[32:33], v[8:9]
	v_add_f64 v[34:35], v[34:35], v[10:11]
	s_mov_b32 s38, s30
	s_mov_b32 s35, 0x3fe82f19
	v_add_f64 v[26:27], v[76:77], v[6:7]
	v_add_f64 v[42:43], v[76:77], -v[6:7]
	v_add_f64 v[44:45], v[8:9], v[62:63]
	v_add_f64 v[8:9], v[8:9], -v[62:63]
	s_mov_b32 s34, s24
	v_add_f64 v[64:65], v[16:17], v[38:39]
	v_add_f64 v[46:47], v[10:11], -v[68:69]
	v_add_f64 v[10:11], v[10:11], v[68:69]
	v_mul_f64 v[98:99], v[58:59], s[20:21]
	v_mul_f64 v[100:101], v[54:55], s[22:23]
	v_add_f64 v[66:67], v[16:17], -v[38:39]
	v_mul_f64 v[70:71], v[48:49], s[2:3]
	v_mul_f64 v[72:73], v[50:51], s[8:9]
	;; [unrolled: 1-line block ×7, first 2 shown]
	v_add_f64 v[12:13], v[32:33], v[12:13]
	v_add_f64 v[14:15], v[34:35], v[14:15]
	v_mul_f64 v[32:33], v[48:49], s[20:21]
	v_mul_f64 v[34:35], v[50:51], s[22:23]
	;; [unrolled: 1-line block ×13, first 2 shown]
	v_fma_f64 v[112:113], v[26:27], s[8:9], v[70:71]
	v_fma_f64 v[114:115], v[42:43], s[0:1], v[72:73]
	v_fma_f64 v[70:71], v[26:27], s[8:9], -v[70:71]
	v_fma_f64 v[72:73], v[42:43], s[2:3], v[72:73]
	v_fma_f64 v[116:117], v[26:27], s[18:19], v[74:75]
	;; [unrolled: 1-line block ×3, first 2 shown]
	v_mul_f64 v[86:87], v[46:47], s[24:25]
	v_add_f64 v[12:13], v[12:13], v[36:37]
	v_add_f64 v[14:15], v[14:15], v[16:17]
	v_fma_f64 v[120:121], v[26:27], s[22:23], v[32:33]
	v_fma_f64 v[122:123], v[42:43], s[26:27], v[34:35]
	v_fma_f64 v[32:33], v[26:27], s[22:23], -v[32:33]
	v_fma_f64 v[34:35], v[42:43], s[20:21], v[34:35]
	v_mul_f64 v[94:95], v[46:47], s[26:27]
	v_mul_f64 v[96:97], v[10:11], s[22:23]
	;; [unrolled: 1-line block ×4, first 2 shown]
	v_fma_f64 v[74:75], v[26:27], s[18:19], -v[74:75]
	v_fma_f64 v[76:77], v[42:43], s[10:11], v[76:77]
	v_fma_f64 v[124:125], v[26:27], s[28:29], v[78:79]
	v_fma_f64 v[126:127], v[42:43], s[34:35], v[80:81]
	v_fma_f64 v[78:79], v[26:27], s[28:29], -v[78:79]
	v_fma_f64 v[80:81], v[42:43], s[24:25], v[80:81]
	v_fma_f64 v[128:129], v[26:27], s[36:37], v[48:49]
	v_fma_f64 v[130:131], v[42:43], s[38:39], v[50:51]
	;; [unrolled: 4-line block ×3, first 2 shown]
	v_add_f64 v[12:13], v[12:13], v[40:41]
	v_add_f64 v[14:15], v[14:15], v[28:29]
	v_add_f64 v[112:113], v[0:1], v[112:113]
	v_add_f64 v[114:115], v[2:3], v[114:115]
	v_fma_f64 v[134:135], v[8:9], s[34:35], v[88:89]
	v_mul_f64 v[16:17], v[58:59], s[16:17]
	v_fma_f64 v[136:137], v[44:45], s[36:37], v[90:91]
	v_fma_f64 v[138:139], v[8:9], s[30:31], v[92:93]
	v_fma_f64 v[90:91], v[44:45], s[36:37], -v[90:91]
	v_fma_f64 v[92:93], v[8:9], s[38:39], v[92:93]
	v_add_f64 v[32:33], v[0:1], v[32:33]
	v_add_f64 v[34:35], v[2:3], v[34:35]
	v_fma_f64 v[82:83], v[44:45], s[18:19], -v[82:83]
	v_fma_f64 v[84:85], v[8:9], s[10:11], v[84:85]
	v_fma_f64 v[132:133], v[44:45], s[28:29], v[86:87]
	v_fma_f64 v[86:87], v[44:45], s[28:29], -v[86:87]
	v_fma_f64 v[88:89], v[8:9], s[24:25], v[88:89]
	v_fma_f64 v[140:141], v[44:45], s[22:23], v[94:95]
	;; [unrolled: 1-line block ×3, first 2 shown]
	v_fma_f64 v[94:95], v[44:45], s[22:23], -v[94:95]
	v_fma_f64 v[96:97], v[8:9], s[26:27], v[96:97]
	v_fma_f64 v[144:145], v[44:45], s[8:9], v[46:47]
	v_add_f64 v[12:13], v[12:13], v[30:31]
	v_add_f64 v[14:15], v[14:15], v[24:25]
	v_fma_f64 v[146:147], v[8:9], s[2:3], v[10:11]
	v_fma_f64 v[44:45], v[44:45], s[8:9], -v[46:47]
	v_fma_f64 v[8:9], v[8:9], s[0:1], v[10:11]
	v_fma_f64 v[10:11], v[52:53], s[22:23], v[98:99]
	;; [unrolled: 1-line block ×3, first 2 shown]
	v_add_f64 v[74:75], v[0:1], v[74:75]
	v_add_f64 v[76:77], v[2:3], v[76:77]
	;; [unrolled: 1-line block ×4, first 2 shown]
	v_fma_f64 v[150:151], v[56:57], s[30:31], v[104:105]
	v_mul_f64 v[58:59], v[58:59], s[24:25]
	v_fma_f64 v[152:153], v[52:53], s[18:19], v[16:17]
	v_fma_f64 v[154:155], v[56:57], s[10:11], v[106:107]
	v_fma_f64 v[16:17], v[52:53], s[18:19], -v[16:17]
	v_fma_f64 v[106:107], v[56:57], s[16:17], v[106:107]
	v_add_f64 v[32:33], v[90:91], v[32:33]
	v_add_f64 v[34:35], v[92:93], v[34:35]
	;; [unrolled: 1-line block ×3, first 2 shown]
	v_mul_f64 v[54:55], v[54:55], s[28:29]
	v_fma_f64 v[100:101], v[56:57], s[20:21], v[100:101]
	v_add_f64 v[12:13], v[12:13], v[18:19]
	v_add_f64 v[14:15], v[14:15], v[38:39]
	;; [unrolled: 1-line block ×16, first 2 shown]
	v_add_f64 v[18:19], v[36:37], -v[18:19]
	v_mul_f64 v[36:37], v[64:65], s[28:29]
	v_fma_f64 v[98:99], v[52:53], s[22:23], -v[98:99]
	v_fma_f64 v[148:149], v[52:53], s[36:37], v[102:103]
	v_fma_f64 v[102:103], v[52:53], s[36:37], -v[102:103]
	v_add_f64 v[50:51], v[86:87], v[74:75]
	v_add_f64 v[12:13], v[12:13], v[20:21]
	;; [unrolled: 1-line block ×8, first 2 shown]
	v_fma_f64 v[104:105], v[56:57], s[38:39], v[104:105]
	v_add_f64 v[76:77], v[140:141], v[122:123]
	v_add_f64 v[82:83], v[142:143], v[124:125]
	;; [unrolled: 1-line block ×8, first 2 shown]
	v_fma_f64 v[42:43], v[52:53], s[8:9], v[108:109]
	v_mul_f64 v[26:27], v[66:67], s[24:25]
	v_fma_f64 v[44:45], v[56:57], s[0:1], v[110:111]
	v_fma_f64 v[88:89], v[56:57], s[2:3], v[110:111]
	v_add_f64 v[16:17], v[16:17], v[32:33]
	v_add_f64 v[32:33], v[106:107], v[34:35]
	;; [unrolled: 1-line block ×3, first 2 shown]
	v_mul_f64 v[62:63], v[64:65], s[22:23]
	v_add_f64 v[14:15], v[14:15], v[68:69]
	v_fma_f64 v[68:69], v[52:53], s[8:9], -v[108:109]
	v_fma_f64 v[34:35], v[52:53], s[28:29], -v[58:59]
	v_add_f64 v[46:47], v[150:151], v[48:49]
	v_mul_f64 v[48:49], v[66:67], s[26:27]
	v_add_f64 v[72:73], v[136:137], v[118:119]
	v_fma_f64 v[90:91], v[52:53], s[28:29], v[58:59]
	v_mul_f64 v[58:59], v[66:67], s[2:3]
	v_add_f64 v[74:75], v[138:139], v[120:121]
	v_add_f64 v[22:23], v[100:101], v[22:23]
	v_fma_f64 v[92:93], v[56:57], s[34:35], v[54:55]
	v_fma_f64 v[52:53], v[56:57], s[24:25], v[54:55]
	;; [unrolled: 1-line block ×4, first 2 shown]
	v_add_f64 v[42:43], v[42:43], v[76:77]
	v_mul_f64 v[76:77], v[64:65], s[8:9]
	v_add_f64 v[20:21], v[98:99], v[20:21]
	v_add_f64 v[38:39], v[148:149], v[38:39]
	v_fma_f64 v[54:55], v[60:61], s[28:29], v[26:27]
	v_add_f64 v[44:45], v[44:45], v[82:83]
	v_fma_f64 v[26:27], v[60:61], s[28:29], -v[26:27]
	v_add_f64 v[50:51], v[102:103], v[50:51]
	v_fma_f64 v[94:95], v[18:19], s[20:21], v[62:63]
	v_add_f64 v[70:71], v[104:105], v[70:71]
	v_add_f64 v[68:69], v[68:69], v[78:79]
	v_fma_f64 v[62:63], v[18:19], s[26:27], v[62:63]
	v_fma_f64 v[82:83], v[60:61], s[22:23], v[48:49]
	v_fma_f64 v[48:49], v[60:61], s[22:23], -v[48:49]
	v_add_f64 v[78:79], v[88:89], v[80:81]
	v_mul_f64 v[80:81], v[66:67], s[30:31]
	v_mul_f64 v[88:89], v[64:65], s[36:37]
	;; [unrolled: 1-line block ×4, first 2 shown]
	v_add_f64 v[0:1], v[34:35], v[0:1]
	v_add_f64 v[34:35], v[28:29], -v[24:25]
	v_add_f64 v[24:25], v[28:29], v[24:25]
	v_add_f64 v[84:85], v[144:145], v[126:127]
	;; [unrolled: 1-line block ×4, first 2 shown]
	v_fma_f64 v[28:29], v[60:61], s[8:9], v[58:59]
	v_add_f64 v[74:75], v[154:155], v[74:75]
	v_add_f64 v[2:3], v[52:53], v[2:3]
	v_add_f64 v[52:53], v[36:37], v[22:23]
	v_fma_f64 v[22:23], v[18:19], s[0:1], v[76:77]
	v_add_f64 v[20:21], v[26:27], v[20:21]
	v_add_f64 v[36:37], v[94:95], v[46:47]
	;; [unrolled: 1-line block ×5, first 2 shown]
	v_fma_f64 v[38:39], v[60:61], s[8:9], -v[58:59]
	v_add_f64 v[46:47], v[48:49], v[50:51]
	v_fma_f64 v[50:51], v[18:19], s[2:3], v[76:77]
	v_add_f64 v[48:49], v[62:63], v[70:71]
	v_fma_f64 v[54:55], v[60:61], s[36:37], v[80:81]
	v_fma_f64 v[56:57], v[18:19], s[38:39], v[88:89]
	v_fma_f64 v[58:59], v[60:61], s[36:37], -v[80:81]
	v_fma_f64 v[62:63], v[18:19], s[30:31], v[88:89]
	v_fma_f64 v[70:71], v[60:61], s[18:19], v[66:67]
	;; [unrolled: 1-line block ×3, first 2 shown]
	v_fma_f64 v[60:61], v[60:61], s[18:19], -v[66:67]
	v_fma_f64 v[18:19], v[18:19], s[16:17], v[64:65]
	v_add_f64 v[64:65], v[40:41], v[30:31]
	v_add_f64 v[30:31], v[40:41], -v[30:31]
	v_mul_f64 v[40:41], v[34:35], s[30:31]
	v_mul_f64 v[66:67], v[24:25], s[36:37]
	v_add_f64 v[84:85], v[90:91], v[84:85]
	v_add_f64 v[86:87], v[92:93], v[86:87]
	;; [unrolled: 1-line block ×3, first 2 shown]
	v_mul_f64 v[72:73], v[34:35], s[0:1]
	v_mul_f64 v[80:81], v[24:25], s[8:9]
	v_add_f64 v[22:23], v[22:23], v[74:75]
	v_mul_f64 v[74:75], v[34:35], s[24:25]
	v_mul_f64 v[82:83], v[24:25], s[28:29]
	v_add_f64 v[38:39], v[38:39], v[16:17]
	;; [unrolled: 3-line block ×4, first 2 shown]
	v_add_f64 v[42:43], v[56:57], v[44:45]
	v_add_f64 v[44:45], v[58:59], v[68:69]
	;; [unrolled: 1-line block ×5, first 2 shown]
	v_fma_f64 v[62:63], v[64:65], s[36:37], v[40:41]
	v_fma_f64 v[68:69], v[30:31], s[38:39], v[66:67]
	v_add_f64 v[56:57], v[70:71], v[84:85]
	v_add_f64 v[58:59], v[76:77], v[86:87]
	v_fma_f64 v[40:41], v[64:65], s[36:37], -v[40:41]
	v_fma_f64 v[70:71], v[64:65], s[8:9], v[72:73]
	v_fma_f64 v[76:77], v[30:31], s[2:3], v[80:81]
	v_fma_f64 v[72:73], v[64:65], s[8:9], -v[72:73]
	v_fma_f64 v[78:79], v[64:65], s[28:29], v[74:75]
	v_fma_f64 v[84:85], v[30:31], s[34:35], v[82:83]
	;; [unrolled: 3-line block ×5, first 2 shown]
	v_fma_f64 v[82:83], v[30:31], s[24:25], v[82:83]
	v_fma_f64 v[80:81], v[30:31], s[0:1], v[80:81]
	;; [unrolled: 1-line block ×3, first 2 shown]
	v_add_f64 v[0:1], v[12:13], v[6:7]
	v_add_f64 v[2:3], v[14:15], v[4:5]
	;; [unrolled: 1-line block ×22, first 2 shown]
	ds_write_b128 v160, v[0:3]
	ds_write_b128 v160, v[4:7] offset:1040
	ds_write_b128 v160, v[12:15] offset:2080
	;; [unrolled: 1-line block ×10, first 2 shown]
	s_waitcnt lgkmcnt(0)
	s_barrier
	buffer_gl0_inv
	s_clause 0x1
	buffer_load_dword v54, off, s[48:51], 0 offset:12
	buffer_load_dword v55, off, s[48:51], 0 offset:16
	s_and_b32 s0, exec_lo, vcc_lo
	s_mov_b32 exec_lo, s0
	s_cbranch_execz .LBB0_23
; %bb.22:
	buffer_load_dword v10, off, s[48:51], 0 offset:4 ; 4-byte Folded Reload
	s_waitcnt vmcnt(2)
	v_mad_u64_u32 v[50:51], null, s6, v54, 0
	s_mul_hi_u32 s1, s4, 0x370
	s_mul_i32 s2, s4, 0x370
	s_waitcnt vmcnt(0)
	v_add_co_u32 v0, s0, s14, v10
	v_add_co_ci_u32_e64 v1, null, s15, 0, s0
	s_clause 0x2
	global_load_dwordx4 v[2:5], v10, s[14:15]
	global_load_dwordx4 v[6:9], v10, s[14:15] offset:880
	global_load_dwordx4 v[10:13], v10, s[14:15] offset:1760
	v_add_co_u32 v18, vcc_lo, 0x800, v0
	v_add_co_ci_u32_e32 v19, vcc_lo, 0, v1, vcc_lo
	v_add_co_u32 v26, vcc_lo, 0x1000, v0
	v_add_co_ci_u32_e32 v27, vcc_lo, 0, v1, vcc_lo
	;; [unrolled: 2-line block ×4, first 2 shown]
	s_clause 0x8
	global_load_dwordx4 v[14:17], v[18:19], off offset:592
	global_load_dwordx4 v[18:21], v[18:19], off offset:1472
	;; [unrolled: 1-line block ×9, first 2 shown]
	buffer_load_dword v56, off, s[48:51], 0 ; 4-byte Folded Reload
	s_mul_i32 s0, s5, 0x370
	s_add_i32 s3, s1, s0
	s_mov_b32 s0, 0xd118b474
	s_mov_b32 s1, 0x3f56ea28
	s_waitcnt vmcnt(0)
	v_mad_u64_u32 v[52:53], null, s4, v56, 0
	v_mad_u64_u32 v[54:55], null, s7, v54, v[51:52]
	;; [unrolled: 1-line block ×3, first 2 shown]
	v_mov_b32_e32 v51, v54
	v_lshlrev_b64 v[50:51], 4, v[50:51]
	v_mov_b32_e32 v53, v55
	v_lshlrev_b64 v[52:53], 4, v[52:53]
	v_add_co_u32 v50, vcc_lo, s12, v50
	v_add_co_ci_u32_e32 v51, vcc_lo, s13, v51, vcc_lo
	v_add_co_u32 v98, vcc_lo, v50, v52
	v_add_co_ci_u32_e32 v99, vcc_lo, v51, v53, vcc_lo
	ds_read_b128 v[50:53], v160
	ds_read_b128 v[54:57], v160 offset:880
	ds_read_b128 v[58:61], v160 offset:1760
	;; [unrolled: 1-line block ×11, first 2 shown]
	v_add_co_u32 v100, vcc_lo, v98, s2
	v_add_co_ci_u32_e32 v101, vcc_lo, s3, v99, vcc_lo
	v_add_co_u32 v102, vcc_lo, v100, s2
	v_add_co_ci_u32_e32 v103, vcc_lo, s3, v101, vcc_lo
	;; [unrolled: 2-line block ×3, first 2 shown]
	s_waitcnt lgkmcnt(11)
	v_mul_f64 v[118:119], v[52:53], v[4:5]
	v_mul_f64 v[4:5], v[50:51], v[4:5]
	s_waitcnt lgkmcnt(10)
	v_mul_f64 v[120:121], v[56:57], v[8:9]
	v_mul_f64 v[8:9], v[54:55], v[8:9]
	;; [unrolled: 3-line block ×12, first 2 shown]
	v_fma_f64 v[50:51], v[50:51], v[2:3], v[118:119]
	v_fma_f64 v[4:5], v[2:3], v[52:53], -v[4:5]
	v_fma_f64 v[52:53], v[54:55], v[6:7], v[120:121]
	v_fma_f64 v[8:9], v[6:7], v[56:57], -v[8:9]
	;; [unrolled: 2-line block ×5, first 2 shown]
	v_add_co_u32 v106, vcc_lo, v104, s2
	v_fma_f64 v[60:61], v[70:71], v[22:23], v[128:129]
	v_fma_f64 v[24:25], v[22:23], v[72:73], -v[24:25]
	v_fma_f64 v[62:63], v[74:75], v[26:27], v[130:131]
	v_fma_f64 v[28:29], v[26:27], v[76:77], -v[28:29]
	v_add_co_ci_u32_e32 v107, vcc_lo, s3, v105, vcc_lo
	v_fma_f64 v[64:65], v[78:79], v[30:31], v[132:133]
	v_fma_f64 v[32:33], v[30:31], v[80:81], -v[32:33]
	v_fma_f64 v[66:67], v[82:83], v[34:35], v[134:135]
	v_fma_f64 v[36:37], v[34:35], v[84:85], -v[36:37]
	;; [unrolled: 2-line block ×3, first 2 shown]
	v_add_co_u32 v108, vcc_lo, v106, s2
	v_fma_f64 v[70:71], v[90:91], v[42:43], v[138:139]
	v_fma_f64 v[44:45], v[42:43], v[92:93], -v[44:45]
	v_fma_f64 v[72:73], v[94:95], v[46:47], v[140:141]
	v_fma_f64 v[48:49], v[46:47], v[96:97], -v[48:49]
	v_add_co_ci_u32_e32 v109, vcc_lo, s3, v107, vcc_lo
	v_add_co_u32 v110, vcc_lo, v108, s2
	v_mul_f64 v[2:3], v[50:51], s[0:1]
	v_add_co_ci_u32_e32 v111, vcc_lo, s3, v109, vcc_lo
	v_add_co_u32 v112, vcc_lo, v110, s2
	v_mul_f64 v[4:5], v[4:5], s[0:1]
	v_add_co_ci_u32_e32 v113, vcc_lo, s3, v111, vcc_lo
	v_mul_f64 v[6:7], v[52:53], s[0:1]
	v_mul_f64 v[8:9], v[8:9], s[0:1]
	;; [unrolled: 1-line block ×4, first 2 shown]
	v_add_co_u32 v114, vcc_lo, v112, s2
	v_mul_f64 v[14:15], v[56:57], s[0:1]
	v_mul_f64 v[16:17], v[16:17], s[0:1]
	;; [unrolled: 1-line block ×4, first 2 shown]
	v_add_co_ci_u32_e32 v115, vcc_lo, s3, v113, vcc_lo
	v_mul_f64 v[22:23], v[60:61], s[0:1]
	v_mul_f64 v[24:25], v[24:25], s[0:1]
	;; [unrolled: 1-line block ×6, first 2 shown]
	v_add_co_u32 v116, vcc_lo, v114, s2
	v_mul_f64 v[34:35], v[66:67], s[0:1]
	v_mul_f64 v[36:37], v[36:37], s[0:1]
	;; [unrolled: 1-line block ×4, first 2 shown]
	v_add_co_ci_u32_e32 v117, vcc_lo, s3, v115, vcc_lo
	v_mul_f64 v[42:43], v[70:71], s[0:1]
	v_mul_f64 v[44:45], v[44:45], s[0:1]
	;; [unrolled: 1-line block ×4, first 2 shown]
	v_add_co_u32 v50, vcc_lo, v116, s2
	v_add_co_ci_u32_e32 v51, vcc_lo, s3, v117, vcc_lo
	v_add_co_u32 v0, vcc_lo, 0x2800, v0
	v_add_co_ci_u32_e32 v1, vcc_lo, 0, v1, vcc_lo
	;; [unrolled: 2-line block ×3, first 2 shown]
	global_store_dwordx4 v[98:99], v[2:5], off
	global_store_dwordx4 v[100:101], v[6:9], off
	;; [unrolled: 1-line block ×12, first 2 shown]
	global_load_dwordx4 v[0:3], v[0:1], off offset:320
	ds_read_b128 v[4:7], v160 offset:10560
	s_waitcnt vmcnt(0) lgkmcnt(0)
	v_mul_f64 v[8:9], v[6:7], v[2:3]
	v_mul_f64 v[2:3], v[4:5], v[2:3]
	v_fma_f64 v[4:5], v[4:5], v[0:1], v[8:9]
	v_fma_f64 v[2:3], v[0:1], v[6:7], -v[2:3]
	v_mul_f64 v[0:1], v[4:5], s[0:1]
	v_mul_f64 v[2:3], v[2:3], s[0:1]
	v_add_co_u32 v4, vcc_lo, v52, s2
	v_add_co_ci_u32_e32 v5, vcc_lo, s3, v53, vcc_lo
	global_store_dwordx4 v[4:5], v[0:3], off
.LBB0_23:
	s_endpgm
	.section	.rodata,"a",@progbits
	.p2align	6, 0x0
	.amdhsa_kernel bluestein_single_fwd_len715_dim1_dp_op_CI_CI
		.amdhsa_group_segment_fixed_size 34320
		.amdhsa_private_segment_fixed_size 152
		.amdhsa_kernarg_size 104
		.amdhsa_user_sgpr_count 6
		.amdhsa_user_sgpr_private_segment_buffer 1
		.amdhsa_user_sgpr_dispatch_ptr 0
		.amdhsa_user_sgpr_queue_ptr 0
		.amdhsa_user_sgpr_kernarg_segment_ptr 1
		.amdhsa_user_sgpr_dispatch_id 0
		.amdhsa_user_sgpr_flat_scratch_init 0
		.amdhsa_user_sgpr_private_segment_size 0
		.amdhsa_wavefront_size32 1
		.amdhsa_uses_dynamic_stack 0
		.amdhsa_system_sgpr_private_segment_wavefront_offset 1
		.amdhsa_system_sgpr_workgroup_id_x 1
		.amdhsa_system_sgpr_workgroup_id_y 0
		.amdhsa_system_sgpr_workgroup_id_z 0
		.amdhsa_system_sgpr_workgroup_info 0
		.amdhsa_system_vgpr_workitem_id 0
		.amdhsa_next_free_vgpr 256
		.amdhsa_next_free_sgpr 52
		.amdhsa_reserve_vcc 1
		.amdhsa_reserve_flat_scratch 0
		.amdhsa_float_round_mode_32 0
		.amdhsa_float_round_mode_16_64 0
		.amdhsa_float_denorm_mode_32 3
		.amdhsa_float_denorm_mode_16_64 3
		.amdhsa_dx10_clamp 1
		.amdhsa_ieee_mode 1
		.amdhsa_fp16_overflow 0
		.amdhsa_workgroup_processor_mode 1
		.amdhsa_memory_ordered 1
		.amdhsa_forward_progress 0
		.amdhsa_shared_vgpr_count 0
		.amdhsa_exception_fp_ieee_invalid_op 0
		.amdhsa_exception_fp_denorm_src 0
		.amdhsa_exception_fp_ieee_div_zero 0
		.amdhsa_exception_fp_ieee_overflow 0
		.amdhsa_exception_fp_ieee_underflow 0
		.amdhsa_exception_fp_ieee_inexact 0
		.amdhsa_exception_int_div_zero 0
	.end_amdhsa_kernel
	.text
.Lfunc_end0:
	.size	bluestein_single_fwd_len715_dim1_dp_op_CI_CI, .Lfunc_end0-bluestein_single_fwd_len715_dim1_dp_op_CI_CI
                                        ; -- End function
	.section	.AMDGPU.csdata,"",@progbits
; Kernel info:
; codeLenInByte = 23980
; NumSgprs: 54
; NumVgprs: 256
; ScratchSize: 152
; MemoryBound: 0
; FloatMode: 240
; IeeeMode: 1
; LDSByteSize: 34320 bytes/workgroup (compile time only)
; SGPRBlocks: 6
; VGPRBlocks: 31
; NumSGPRsForWavesPerEU: 54
; NumVGPRsForWavesPerEU: 256
; Occupancy: 4
; WaveLimiterHint : 1
; COMPUTE_PGM_RSRC2:SCRATCH_EN: 1
; COMPUTE_PGM_RSRC2:USER_SGPR: 6
; COMPUTE_PGM_RSRC2:TRAP_HANDLER: 0
; COMPUTE_PGM_RSRC2:TGID_X_EN: 1
; COMPUTE_PGM_RSRC2:TGID_Y_EN: 0
; COMPUTE_PGM_RSRC2:TGID_Z_EN: 0
; COMPUTE_PGM_RSRC2:TIDIG_COMP_CNT: 0
	.text
	.p2alignl 6, 3214868480
	.fill 48, 4, 3214868480
	.type	__hip_cuid_1d9a57198522d7ca,@object ; @__hip_cuid_1d9a57198522d7ca
	.section	.bss,"aw",@nobits
	.globl	__hip_cuid_1d9a57198522d7ca
__hip_cuid_1d9a57198522d7ca:
	.byte	0                               ; 0x0
	.size	__hip_cuid_1d9a57198522d7ca, 1

	.ident	"AMD clang version 19.0.0git (https://github.com/RadeonOpenCompute/llvm-project roc-6.4.0 25133 c7fe45cf4b819c5991fe208aaa96edf142730f1d)"
	.section	".note.GNU-stack","",@progbits
	.addrsig
	.addrsig_sym __hip_cuid_1d9a57198522d7ca
	.amdgpu_metadata
---
amdhsa.kernels:
  - .args:
      - .actual_access:  read_only
        .address_space:  global
        .offset:         0
        .size:           8
        .value_kind:     global_buffer
      - .actual_access:  read_only
        .address_space:  global
        .offset:         8
        .size:           8
        .value_kind:     global_buffer
      - .actual_access:  read_only
        .address_space:  global
        .offset:         16
        .size:           8
        .value_kind:     global_buffer
      - .actual_access:  read_only
        .address_space:  global
        .offset:         24
        .size:           8
        .value_kind:     global_buffer
      - .actual_access:  read_only
        .address_space:  global
        .offset:         32
        .size:           8
        .value_kind:     global_buffer
      - .offset:         40
        .size:           8
        .value_kind:     by_value
      - .address_space:  global
        .offset:         48
        .size:           8
        .value_kind:     global_buffer
      - .address_space:  global
        .offset:         56
        .size:           8
        .value_kind:     global_buffer
      - .address_space:  global
        .offset:         64
        .size:           8
        .value_kind:     global_buffer
      - .address_space:  global
        .offset:         72
        .size:           8
        .value_kind:     global_buffer
      - .offset:         80
        .size:           4
        .value_kind:     by_value
      - .address_space:  global
        .offset:         88
        .size:           8
        .value_kind:     global_buffer
      - .address_space:  global
        .offset:         96
        .size:           8
        .value_kind:     global_buffer
    .group_segment_fixed_size: 34320
    .kernarg_segment_align: 8
    .kernarg_segment_size: 104
    .language:       OpenCL C
    .language_version:
      - 2
      - 0
    .max_flat_workgroup_size: 195
    .name:           bluestein_single_fwd_len715_dim1_dp_op_CI_CI
    .private_segment_fixed_size: 152
    .sgpr_count:     54
    .sgpr_spill_count: 0
    .symbol:         bluestein_single_fwd_len715_dim1_dp_op_CI_CI.kd
    .uniform_work_group_size: 1
    .uses_dynamic_stack: false
    .vgpr_count:     256
    .vgpr_spill_count: 45
    .wavefront_size: 32
    .workgroup_processor_mode: 1
amdhsa.target:   amdgcn-amd-amdhsa--gfx1030
amdhsa.version:
  - 1
  - 2
...

	.end_amdgpu_metadata
